;; amdgpu-corpus repo=ROCm/rocFFT kind=compiled arch=gfx1201 opt=O3
	.text
	.amdgcn_target "amdgcn-amd-amdhsa--gfx1201"
	.amdhsa_code_object_version 6
	.protected	bluestein_single_fwd_len3200_dim1_sp_op_CI_CI ; -- Begin function bluestein_single_fwd_len3200_dim1_sp_op_CI_CI
	.globl	bluestein_single_fwd_len3200_dim1_sp_op_CI_CI
	.p2align	8
	.type	bluestein_single_fwd_len3200_dim1_sp_op_CI_CI,@function
bluestein_single_fwd_len3200_dim1_sp_op_CI_CI: ; @bluestein_single_fwd_len3200_dim1_sp_op_CI_CI
; %bb.0:
	s_load_b128 s[16:19], s[0:1], 0x28
	v_mul_u32_u24_e32 v1, 0x19a, v0
	s_mov_b32 s2, exec_lo
	v_mov_b32_e32 v214, 0
	s_delay_alu instid0(VALU_DEP_2) | instskip(NEXT) | instid1(VALU_DEP_1)
	v_lshrrev_b32_e32 v1, 16, v1
	v_add_nc_u32_e32 v213, ttmp9, v1
	s_wait_kmcnt 0x0
	s_delay_alu instid0(VALU_DEP_1)
	v_cmpx_gt_u64_e64 s[16:17], v[213:214]
	s_cbranch_execz .LBB0_2
; %bb.1:
	s_clause 0x1
	s_load_b128 s[4:7], s[0:1], 0x18
	s_load_b128 s[8:11], s[0:1], 0x0
	v_mul_lo_u16 v1, 0xa0, v1
	s_load_b64 s[0:1], s[0:1], 0x38
	s_delay_alu instid0(VALU_DEP_1) | instskip(NEXT) | instid1(VALU_DEP_1)
	v_sub_nc_u16 v72, v0, v1
	v_and_b32_e32 v191, 0xffff, v72
	s_delay_alu instid0(VALU_DEP_1)
	v_or_b32_e32 v11, 0xa00, v191
	v_or_b32_e32 v12, 0x500, v191
	s_wait_kmcnt 0x0
	s_load_b128 s[12:15], s[4:5], 0x0
	s_clause 0x1
	scratch_store_b32 off, v11, off
	scratch_store_b32 off, v12, off offset:4
	s_wait_kmcnt 0x0
	v_mad_co_u64_u32 v[0:1], null, s14, v213, 0
	v_mad_co_u64_u32 v[2:3], null, s12, v191, 0
	;; [unrolled: 1-line block ×3, first 2 shown]
	s_mul_u64 s[2:3], s[12:13], 0xa00
	s_mul_i32 s4, s13, 0x1400
	s_delay_alu instid0(VALU_DEP_2) | instskip(SKIP_1) | instid1(VALU_DEP_2)
	v_mad_co_u64_u32 v[6:7], null, s15, v213, v[1:2]
	v_mad_co_u64_u32 v[7:8], null, s12, v12, 0
	v_mov_b32_e32 v1, v6
	s_delay_alu instid0(VALU_DEP_4) | instskip(NEXT) | instid1(VALU_DEP_3)
	v_mad_co_u64_u32 v[5:6], null, s13, v11, v[5:6]
	v_mov_b32_e32 v6, v8
	v_lshlrev_b32_e32 v192, 3, v191
	v_mad_co_u64_u32 v[9:10], null, s13, v191, v[3:4]
	v_lshlrev_b64_e32 v[0:1], 3, v[0:1]
	s_clause 0x1
	global_load_b64 v[117:118], v192, s[8:9]
	global_load_b64 v[105:106], v192, s[8:9] offset:20480
	v_add_nc_u32_e32 v194, 0x1400, v192
	v_add_nc_u32_e32 v196, 0x3c00, v192
	v_dual_mov_b32 v3, v9 :: v_dual_add_nc_u32 v200, 0x1c00, v192
	v_mad_co_u64_u32 v[8:9], null, s13, v12, v[6:7]
	v_add_co_u32 v9, vcc_lo, s18, v0
	s_delay_alu instid0(VALU_DEP_3)
	v_lshlrev_b64_e32 v[2:3], 3, v[2:3]
	v_add_co_ci_u32_e32 v10, vcc_lo, s19, v1, vcc_lo
	v_add_nc_u32_e32 v198, 0x4400, v192
	v_add_nc_u32_e32 v206, 0x4000, v192
	;; [unrolled: 1-line block ×3, first 2 shown]
	v_add_co_u32 v0, vcc_lo, v9, v2
	s_wait_alu 0xfffd
	v_add_co_ci_u32_e32 v1, vcc_lo, v10, v3, vcc_lo
	v_lshlrev_b64_e32 v[2:3], 3, v[4:5]
	v_lshlrev_b64_e32 v[4:5], 3, v[7:8]
	v_add_nc_u32_e32 v195, 0x5000, v192
	global_load_b64 v[6:7], v[0:1], off
	v_add_nc_u32_e32 v201, 0x800, v192
	v_add_nc_u32_e32 v199, 0x3000, v192
	v_add_co_u32 v2, vcc_lo, v9, v2
	s_wait_alu 0xfffd
	v_add_co_ci_u32_e32 v3, vcc_lo, v10, v3, vcc_lo
	v_add_co_u32 v4, vcc_lo, v9, v4
	s_wait_alu 0xfffd
	v_add_co_ci_u32_e32 v5, vcc_lo, v10, v5, vcc_lo
	global_load_b64 v[2:3], v[2:3], off
	global_load_b64 v[107:108], v192, s[8:9] offset:10240
	v_add_co_u32 v0, vcc_lo, v0, s2
	global_load_b64 v[4:5], v[4:5], off
	s_wait_alu 0xfffd
	v_add_co_ci_u32_e32 v1, vcc_lo, s3, v1, vcc_lo
	global_load_b64 v[8:9], v[0:1], off
	s_clause 0x6
	global_load_b64 v[113:114], v192, s[8:9] offset:2560
	global_load_b64 v[125:126], v192, s[8:9] offset:3840
	;; [unrolled: 1-line block ×7, first 2 shown]
	v_add_co_u32 v0, vcc_lo, v0, s2
	s_wait_alu 0xfffd
	v_add_co_ci_u32_e32 v1, vcc_lo, s3, v1, vcc_lo
	v_add_nc_u32_e32 v197, 0x5800, v192
	s_delay_alu instid0(VALU_DEP_3) | instskip(SKIP_1) | instid1(VALU_DEP_3)
	v_add_co_u32 v12, vcc_lo, v0, s2
	s_wait_alu 0xfffd
	v_add_co_ci_u32_e32 v13, vcc_lo, s3, v1, vcc_lo
	global_load_b64 v[0:1], v[0:1], off
	v_add_nc_u32_e32 v217, 0x3400, v192
	v_add_nc_u32_e32 v219, 0x4c00, v192
	s_wait_loadcnt 0xc
	v_mul_f32_e32 v11, v6, v118
	v_mul_f32_e32 v10, v7, v118
	s_delay_alu instid0(VALU_DEP_1) | instskip(SKIP_3) | instid1(VALU_DEP_2)
	v_fmac_f32_e32 v10, v6, v117
	s_wait_loadcnt 0xb
	v_mul_f32_e32 v14, v3, v106
	v_mul_f32_e32 v15, v2, v106
	v_fmac_f32_e32 v14, v2, v105
	s_wait_loadcnt 0x9
	v_mul_f32_e32 v2, v5, v108
	v_fma_f32 v11, v7, v117, -v11
	global_load_b64 v[6:7], v[12:13], off
	s_clause 0x3
	global_load_b64 v[143:144], v192, s[8:9] offset:5120
	global_load_b64 v[135:136], v192, s[8:9] offset:8960
	;; [unrolled: 1-line block ×4, first 2 shown]
	v_fmac_f32_e32 v2, v4, v107
	v_fma_f32 v15, v3, v105, -v15
	s_wait_loadcnt 0xc
	v_dual_mul_f32 v3, v4, v108 :: v_dual_mul_f32 v4, v9, v114
	s_delay_alu instid0(VALU_DEP_1) | instskip(SKIP_1) | instid1(VALU_DEP_3)
	v_fma_f32 v3, v5, v107, -v3
	v_mul_f32_e32 v5, v8, v114
	v_fmac_f32_e32 v4, v8, v113
	s_delay_alu instid0(VALU_DEP_2) | instskip(SKIP_2) | instid1(VALU_DEP_1)
	v_fma_f32 v5, v9, v113, -v5
	s_wait_loadcnt 0x3
	v_mul_f32_e32 v8, v0, v144
	v_fma_f32 v9, v1, v143, -v8
	v_mul_f32_e32 v8, v1, v144
	s_delay_alu instid0(VALU_DEP_1)
	v_fmac_f32_e32 v8, v0, v143
	s_wait_loadcnt 0x0
	v_mul_f32_e32 v0, v6, v140
	ds_store_b64 v192, v[4:5] offset:2560
	ds_store_b64 v192, v[8:9] offset:5120
	;; [unrolled: 1-line block ×3, first 2 shown]
	v_mad_co_u64_u32 v[2:3], null, 0x1400, s12, v[12:13]
	v_fma_f32 v1, v7, v139, -v0
	v_mul_f32_e32 v0, v7, v140
	s_delay_alu instid0(VALU_DEP_1) | instskip(NEXT) | instid1(VALU_DEP_4)
	v_fmac_f32_e32 v0, v6, v139
	v_add_nc_u32_e32 v3, s4, v3
	ds_store_b64 v192, v[0:1] offset:7680
	v_add_co_u32 v0, vcc_lo, v2, s2
	s_wait_alu 0xfffd
	v_add_co_ci_u32_e32 v1, vcc_lo, s3, v3, vcc_lo
	global_load_b64 v[2:3], v[2:3], off
	global_load_b64 v[137:138], v192, s[8:9] offset:12800
	v_add_co_u32 v5, vcc_lo, v0, s2
	s_wait_alu 0xfffd
	v_add_co_ci_u32_e32 v6, vcc_lo, s3, v1, vcc_lo
	global_load_b64 v[0:1], v[0:1], off
	s_clause 0x3
	global_load_b64 v[131:132], v192, s[8:9] offset:15360
	global_load_b64 v[121:122], v192, s[8:9] offset:19200
	;; [unrolled: 1-line block ×4, first 2 shown]
	global_load_b64 v[7:8], v[5:6], off
	v_mad_co_u64_u32 v[5:6], null, 0x1400, s12, v[5:6]
	s_delay_alu instid0(VALU_DEP_1)
	v_add_nc_u32_e32 v6, s4, v6
	global_load_b64 v[119:120], v192, s[8:9] offset:23040
	global_load_b64 v[12:13], v[5:6], off
	v_mad_co_u64_u32 v[5:6], null, 0xffffab00, s12, v[5:6]
	s_mul_i32 s4, s13, 0xffffab00
	s_wait_alu 0xfffe
	s_sub_co_i32 s4, s4, s12
	s_wait_alu 0xfffe
	s_delay_alu instid0(VALU_DEP_1) | instskip(SKIP_2) | instid1(VALU_DEP_1)
	v_add_nc_u32_e32 v6, s4, v6
	s_wait_loadcnt 0x8
	v_mul_f32_e32 v4, v2, v138
	v_fma_f32 v4, v3, v137, -v4
	v_mul_f32_e32 v3, v3, v138
	s_wait_loadcnt 0x6
	s_delay_alu instid0(VALU_DEP_1) | instskip(NEXT) | instid1(VALU_DEP_1)
	v_dual_fmac_f32 v3, v2, v137 :: v_dual_mul_f32 v2, v0, v132
	v_fma_f32 v2, v1, v131, -v2
	v_mul_f32_e32 v1, v1, v132
	s_wait_loadcnt 0x0
	s_delay_alu instid0(VALU_DEP_1) | instskip(SKIP_1) | instid1(VALU_DEP_2)
	v_dual_mul_f32 v16, v13, v120 :: v_dual_fmac_f32 v1, v0, v131
	v_mul_f32_e32 v0, v7, v128
	v_fmac_f32_e32 v16, v12, v119
	s_delay_alu instid0(VALU_DEP_2) | instskip(SKIP_2) | instid1(VALU_DEP_2)
	v_fma_f32 v9, v8, v127, -v0
	v_mul_f32_e32 v0, v12, v120
	v_mul_f32_e32 v8, v8, v128
	v_fma_f32 v17, v13, v119, -v0
	global_load_b64 v[12:13], v[5:6], off
	v_fmac_f32_e32 v8, v7, v127
	s_wait_loadcnt 0x0
	v_mul_f32_e32 v0, v12, v134
	v_mul_f32_e32 v18, v13, v134
	s_delay_alu instid0(VALU_DEP_2) | instskip(SKIP_1) | instid1(VALU_DEP_3)
	v_fma_f32 v19, v13, v133, -v0
	v_add_co_u32 v0, vcc_lo, v5, s2
	v_fmac_f32_e32 v18, v12, v133
	ds_store_b64 v192, v[3:4] offset:12800
	ds_store_b64 v192, v[1:2] offset:15360
	;; [unrolled: 1-line block ×5, first 2 shown]
	ds_store_2addr_b64 v192, v[10:11], v[18:19] offset1:160
	s_wait_alu 0xfffd
	v_add_co_ci_u32_e32 v1, vcc_lo, s3, v6, vcc_lo
	v_add_co_u32 v2, vcc_lo, v0, s2
	s_wait_alu 0xfffd
	s_delay_alu instid0(VALU_DEP_2) | instskip(SKIP_3) | instid1(VALU_DEP_1)
	v_add_co_ci_u32_e32 v3, vcc_lo, s3, v1, vcc_lo
	global_load_b64 v[0:1], v[0:1], off
	s_wait_loadcnt 0x0
	v_mul_f32_e32 v4, v0, v126
	v_fma_f32 v5, v1, v125, -v4
	v_mul_f32_e32 v4, v1, v126
	s_delay_alu instid0(VALU_DEP_1)
	v_fmac_f32_e32 v4, v0, v125
	v_add_co_u32 v0, vcc_lo, v2, s2
	s_wait_alu 0xfffd
	v_add_co_ci_u32_e32 v1, vcc_lo, s3, v3, vcc_lo
	global_load_b64 v[2:3], v[2:3], off
	s_wait_loadcnt 0x0
	v_mul_f32_e32 v6, v2, v142
	s_delay_alu instid0(VALU_DEP_1) | instskip(SKIP_1) | instid1(VALU_DEP_1)
	v_fma_f32 v7, v3, v141, -v6
	v_mul_f32_e32 v6, v3, v142
	v_fmac_f32_e32 v6, v2, v141
	v_add_co_u32 v2, vcc_lo, v0, s2
	s_wait_alu 0xfffd
	v_add_co_ci_u32_e32 v3, vcc_lo, s3, v1, vcc_lo
	global_load_b64 v[0:1], v[0:1], off
	s_wait_loadcnt 0x0
	v_mul_f32_e32 v8, v0, v136
	s_delay_alu instid0(VALU_DEP_1) | instskip(SKIP_1) | instid1(VALU_DEP_1)
	v_fma_f32 v9, v1, v135, -v8
	v_mul_f32_e32 v8, v1, v136
	v_fmac_f32_e32 v8, v0, v135
	global_load_b64 v[0:1], v[2:3], off
	s_wait_loadcnt 0x0
	v_mul_f32_e32 v10, v0, v124
	s_delay_alu instid0(VALU_DEP_1) | instskip(SKIP_1) | instid1(VALU_DEP_1)
	v_fma_f32 v11, v1, v123, -v10
	v_mul_f32_e32 v10, v1, v124
	v_fmac_f32_e32 v10, v0, v123
	v_add_co_u32 v0, vcc_lo, v2, s2
	s_wait_alu 0xfffd
	v_add_co_ci_u32_e32 v1, vcc_lo, s3, v3, vcc_lo
	ds_store_b64 v192, v[4:5] offset:3840
	ds_store_b64 v192, v[6:7] offset:6400
	ds_store_b64 v192, v[8:9] offset:8960
	ds_store_b64 v192, v[10:11] offset:11520
	v_add_co_u32 v2, vcc_lo, v0, s2
	s_wait_alu 0xfffd
	v_add_co_ci_u32_e32 v3, vcc_lo, s3, v1, vcc_lo
	global_load_b64 v[0:1], v[0:1], off
	s_wait_loadcnt 0x0
	v_mul_f32_e32 v4, v0, v116
	s_delay_alu instid0(VALU_DEP_1) | instskip(SKIP_1) | instid1(VALU_DEP_1)
	v_fma_f32 v5, v1, v115, -v4
	v_mul_f32_e32 v4, v1, v116
	v_fmac_f32_e32 v4, v0, v115
	v_add_co_u32 v0, vcc_lo, v2, s2
	s_wait_alu 0xfffd
	v_add_co_ci_u32_e32 v1, vcc_lo, s3, v3, vcc_lo
	global_load_b64 v[2:3], v[2:3], off
	s_wait_loadcnt 0x0
	v_mul_f32_e32 v6, v2, v130
	s_delay_alu instid0(VALU_DEP_1) | instskip(SKIP_1) | instid1(VALU_DEP_1)
	v_fma_f32 v7, v3, v129, -v6
	v_mul_f32_e32 v6, v3, v130
	v_fmac_f32_e32 v6, v2, v129
	;; [unrolled: 10-line block ×3, first 2 shown]
	v_add_co_u32 v0, vcc_lo, v2, s2
	s_wait_alu 0xfffd
	v_add_co_ci_u32_e32 v1, vcc_lo, s3, v3, vcc_lo
	global_load_b64 v[2:3], v[2:3], off
	v_cmp_gt_u16_e32 vcc_lo, 0x64, v72
	global_load_b64 v[0:1], v[0:1], off
	s_wait_loadcnt 0x1
	v_mul_f32_e32 v10, v2, v112
	s_delay_alu instid0(VALU_DEP_1) | instskip(SKIP_1) | instid1(VALU_DEP_1)
	v_fma_f32 v11, v3, v111, -v10
	v_mul_f32_e32 v10, v3, v112
	v_fmac_f32_e32 v10, v2, v111
	s_wait_loadcnt 0x0
	v_mul_f32_e32 v2, v0, v110
	s_delay_alu instid0(VALU_DEP_1) | instskip(SKIP_1) | instid1(VALU_DEP_1)
	v_fma_f32 v2, v1, v109, -v2
	v_mul_f32_e32 v1, v1, v110
	v_fmac_f32_e32 v1, v0, v109
	ds_store_b64 v192, v[4:5] offset:14080
	ds_store_b64 v192, v[6:7] offset:16640
	;; [unrolled: 1-line block ×5, first 2 shown]
	s_load_b128 s[4:7], s[6:7], 0x0
	global_wb scope:SCOPE_SE
	s_wait_storecnt_dscnt 0x0
	s_wait_kmcnt 0x0
	s_barrier_signal -1
	s_barrier_wait -1
	global_inv scope:SCOPE_SE
	ds_load_2addr_b64 v[0:3], v192 offset1:160
	ds_load_2addr_b64 v[4:7], v194 offset1:160
	;; [unrolled: 1-line block ×5, first 2 shown]
	s_wait_dscnt 0x3
	v_add_f32_e32 v12, v0, v4
	s_wait_dscnt 0x2
	v_sub_f32_e32 v57, v4, v8
	s_wait_dscnt 0x1
	v_add_f32_e32 v36, v8, v20
	v_sub_f32_e32 v30, v9, v21
	v_sub_f32_e32 v58, v8, v4
	v_add_f32_e32 v24, v12, v8
	v_add_f32_e32 v12, v1, v5
	;; [unrolled: 1-line block ×3, first 2 shown]
	v_sub_f32_e32 v31, v8, v20
	v_sub_f32_e32 v59, v5, v9
	v_sub_f32_e32 v60, v9, v5
	v_dual_add_f32 v25, v12, v9 :: v_dual_add_f32 v12, v2, v6
	v_dual_sub_f32 v8, v11, v23 :: v_dual_sub_f32 v13, v10, v6
	v_dual_add_f32 v14, v11, v23 :: v_dual_sub_f32 v9, v10, v22
	s_delay_alu instid0(VALU_DEP_3)
	v_add_f32_e32 v26, v12, v10
	v_add_f32_e32 v12, v3, v7
	v_sub_f32_e32 v17, v7, v11
	v_sub_f32_e32 v15, v11, v7
	s_wait_dscnt 0x0
	v_add_f32_e32 v61, v4, v38
	v_sub_f32_e32 v33, v4, v38
	v_dual_add_f32 v27, v12, v11 :: v_dual_add_f32 v12, v10, v22
	v_add_f32_e32 v62, v5, v39
	v_add_f32_e32 v18, v6, v40
	v_sub_f32_e32 v11, v6, v40
	v_dual_add_f32 v19, v7, v41 :: v_dual_add_f32 v4, v24, v20
	v_dual_sub_f32 v65, v39, v21 :: v_dual_sub_f32 v16, v6, v10
	v_sub_f32_e32 v10, v7, v41
	v_dual_add_f32 v6, v26, v22 :: v_dual_add_f32 v7, v27, v23
	v_sub_f32_e32 v66, v21, v39
	v_sub_f32_e32 v32, v5, v39
	v_add_f32_e32 v5, v25, v21
	v_dual_sub_f32 v63, v38, v20 :: v_dual_sub_f32 v64, v20, v38
	v_dual_sub_f32 v29, v41, v23 :: v_dual_sub_f32 v24, v23, v41
	s_delay_alu instid0(VALU_DEP_3)
	v_dual_add_f32 v67, v4, v38 :: v_dual_add_f32 v68, v5, v39
	v_dual_add_f32 v20, v6, v40 :: v_dual_add_f32 v23, v7, v41
	ds_load_2addr_b64 v[4:7], v201 offset0:64 offset1:224
	ds_load_2addr_b64 v[45:48], v200 offset0:64 offset1:224
	;; [unrolled: 1-line block ×5, first 2 shown]
	v_sub_f32_e32 v25, v22, v40
	v_add_f32_e32 v17, v17, v29
	global_wb scope:SCOPE_SE
	s_wait_dscnt 0x0
	s_barrier_signal -1
	s_barrier_wait -1
	global_inv scope:SCOPE_SE
	v_add_f32_e32 v21, v4, v45
	v_sub_f32_e32 v74, v45, v41
	v_sub_f32_e32 v82, v45, v53
	v_add_f32_e32 v71, v41, v49
	v_sub_f32_e32 v75, v41, v45
	v_add_f32_e32 v34, v21, v41
	v_add_f32_e32 v21, v5, v46
	v_dual_sub_f32 v77, v41, v49 :: v_dual_sub_f32 v28, v40, v22
	v_sub_f32_e32 v78, v46, v42
	v_sub_f32_e32 v79, v42, v46
	s_delay_alu instid0(VALU_DEP_4)
	v_add_f32_e32 v35, v21, v42
	v_add_f32_e32 v21, v6, v47
	;; [unrolled: 1-line block ×3, first 2 shown]
	v_sub_f32_e32 v38, v47, v43
	v_sub_f32_e32 v41, v43, v47
	v_add_f32_e32 v35, v35, v50
	v_add_f32_e32 v69, v21, v43
	;; [unrolled: 1-line block ×3, first 2 shown]
	v_dual_sub_f32 v22, v43, v51 :: v_dual_sub_f32 v39, v48, v44
	v_dual_sub_f32 v43, v44, v48 :: v_dual_sub_f32 v80, v46, v54
	s_delay_alu instid0(VALU_DEP_3)
	v_dual_add_f32 v70, v21, v44 :: v_dual_add_f32 v83, v46, v54
	v_dual_sub_f32 v27, v48, v56 :: v_dual_add_f32 v46, v47, v55
	v_add_f32_e32 v34, v34, v49
	v_add_f32_e32 v88, v35, v54
	v_dual_sub_f32 v26, v47, v55 :: v_dual_add_f32 v47, v48, v56
	v_dual_add_f32 v48, v69, v51 :: v_dual_add_f32 v69, v70, v52
	v_sub_f32_e32 v70, v53, v49
	v_sub_f32_e32 v49, v49, v53
	s_delay_alu instid0(VALU_DEP_3) | instskip(SKIP_2) | instid1(VALU_DEP_4)
	v_dual_add_f32 v87, v34, v53 :: v_dual_add_f32 v34, v48, v55
	v_add_f32_e32 v48, v58, v64
	v_fma_f32 v58, -0.5, v61, v0
	v_add_f32_e32 v49, v75, v49
	v_fma_f32 v61, -0.5, v62, v1
	v_sub_f32_e32 v73, v42, v50
	v_dual_add_f32 v76, v42, v50 :: v_dual_sub_f32 v21, v44, v52
	s_delay_alu instid0(VALU_DEP_3) | instskip(SKIP_4) | instid1(VALU_DEP_4)
	v_dual_add_f32 v81, v45, v53 :: v_dual_fmamk_f32 v62, v31, 0x3f737871, v61
	v_fmac_f32_e32 v61, 0xbf737871, v31
	v_dual_sub_f32 v85, v51, v55 :: v_dual_add_f32 v42, v44, v52
	v_dual_sub_f32 v44, v55, v51 :: v_dual_sub_f32 v45, v56, v52
	v_add_f32_e32 v51, v60, v66
	v_fmac_f32_e32 v61, 0x3f167918, v33
	v_fmamk_f32 v60, v30, 0xbf737871, v58
	v_fmac_f32_e32 v62, 0xbf167918, v33
	v_fma_f32 v0, -0.5, v36, v0
	v_mul_lo_u16 v36, v72, 10
	v_fmac_f32_e32 v61, 0x3e9e377a, v51
	v_fmac_f32_e32 v58, 0x3f737871, v30
	v_fmac_f32_e32 v60, 0x3f167918, v32
	v_fmac_f32_e32 v62, 0x3e9e377a, v51
	v_fma_f32 v1, -0.5, v37, v1
	v_fmamk_f32 v37, v32, 0x3f737871, v0
	v_fmac_f32_e32 v58, 0xbf167918, v32
	v_fmac_f32_e32 v60, 0x3e9e377a, v48
	v_and_b32_e32 v36, 0xffff, v36
	v_sub_f32_e32 v84, v54, v50
	v_sub_f32_e32 v86, v52, v56
	v_dual_fmac_f32 v58, 0x3e9e377a, v48 :: v_dual_add_f32 v29, v39, v45
	v_fma_f32 v48, -0.5, v81, v4
	v_lshlrev_b32_e32 v205, 3, v36
	v_add_f32_e32 v35, v69, v56
	v_dual_add_f32 v56, v57, v63 :: v_dual_add_f32 v57, v59, v65
	s_delay_alu instid0(VALU_DEP_4)
	v_fmamk_f32 v51, v73, 0xbf737871, v48
	v_fmac_f32_e32 v48, 0x3f737871, v73
	v_fma_f32 v18, -0.5, v18, v2
	v_fma_f32 v4, -0.5, v71, v4
	v_fmac_f32_e32 v37, 0x3f167918, v30
	v_fmac_f32_e32 v51, 0x3f167918, v80
	v_fmac_f32_e32 v48, 0xbf167918, v80
	v_fmac_f32_e32 v0, 0xbf737871, v32
	v_fma_f32 v2, -0.5, v12, v2
	s_delay_alu instid0(VALU_DEP_4) | instskip(NEXT) | instid1(VALU_DEP_4)
	v_fmac_f32_e32 v51, 0x3e9e377a, v49
	v_fmac_f32_e32 v48, 0x3e9e377a, v49
	v_fma_f32 v49, -0.5, v83, v5
	v_fma_f32 v5, -0.5, v76, v5
	v_fmac_f32_e32 v0, 0xbf167918, v30
	v_mul_f32_e32 v69, 0xbf737871, v51
	s_delay_alu instid0(VALU_DEP_4) | instskip(NEXT) | instid1(VALU_DEP_4)
	v_fmamk_f32 v52, v77, 0x3f737871, v49
	v_fmamk_f32 v53, v82, 0xbf737871, v5
	v_fmac_f32_e32 v5, 0x3f737871, v82
	v_add_f32_e32 v59, v74, v70
	v_fmac_f32_e32 v49, 0xbf737871, v77
	v_fmamk_f32 v74, v33, 0xbf737871, v1
	v_dual_fmac_f32 v1, 0x3f737871, v33 :: v_dual_sub_f32 v50, v50, v54
	v_add_f32_e32 v63, v78, v84
	v_fmac_f32_e32 v5, 0x3f167918, v77
	v_fmac_f32_e32 v52, 0xbf167918, v82
	;; [unrolled: 1-line block ×4, first 2 shown]
	v_mul_f32_e32 v70, 0xbe9e377a, v48
	v_dual_fmac_f32 v5, 0x3e9e377a, v63 :: v_dual_add_f32 v50, v79, v50
	v_fmac_f32_e32 v53, 0xbf167918, v77
	s_delay_alu instid0(VALU_DEP_2)
	v_dual_fmac_f32 v1, 0x3e9e377a, v57 :: v_dual_fmac_f32 v52, 0x3e9e377a, v50
	v_fmac_f32_e32 v49, 0x3e9e377a, v50
	v_fmamk_f32 v50, v80, 0x3f737871, v4
	v_fmac_f32_e32 v4, 0xbf737871, v80
	v_fmac_f32_e32 v53, 0x3e9e377a, v63
	v_mul_f32_e32 v66, 0x3f737871, v52
	v_fmac_f32_e32 v70, 0x3f737871, v49
	v_mul_f32_e32 v71, 0xbe9e377a, v49
	v_dual_add_f32 v49, v68, v88 :: v_dual_fmac_f32 v50, 0x3f167918, v73
	v_fmac_f32_e32 v4, 0xbf167918, v73
	v_fmac_f32_e32 v74, 0xbf167918, v31
	s_delay_alu instid0(VALU_DEP_4)
	v_fmac_f32_e32 v71, 0xbf737871, v48
	v_add_f32_e32 v16, v16, v28
	v_fmac_f32_e32 v50, 0x3e9e377a, v59
	v_fmac_f32_e32 v4, 0x3e9e377a, v59
	;; [unrolled: 1-line block ×3, first 2 shown]
	v_add_f32_e32 v48, v67, v87
	v_fmac_f32_e32 v66, 0x3e9e377a, v51
	v_mul_f32_e32 v64, 0x3f4f1bbd, v50
	v_mul_f32_e32 v65, 0xbf167918, v50
	;; [unrolled: 1-line block ×3, first 2 shown]
	v_fmac_f32_e32 v37, 0x3e9e377a, v56
	v_fmac_f32_e32 v69, 0x3e9e377a, v52
	;; [unrolled: 1-line block ×5, first 2 shown]
	v_mul_f32_e32 v5, 0xbf4f1bbd, v5
	v_fmac_f32_e32 v0, 0x3e9e377a, v56
	s_delay_alu instid0(VALU_DEP_4) | instskip(NEXT) | instid1(VALU_DEP_3)
	v_dual_add_f32 v50, v37, v64 :: v_dual_add_f32 v51, v74, v65
	v_dual_add_f32 v52, v60, v66 :: v_dual_fmac_f32 v5, 0xbf167918, v4
	v_add_f32_e32 v54, v58, v70
	v_add_f32_e32 v53, v62, v69
	;; [unrolled: 1-line block ×3, first 2 shown]
	ds_store_b128 v205, v[48:51]
	ds_store_b128 v205, v[52:55] offset:16
	v_dual_sub_f32 v50, v67, v87 :: v_dual_sub_f32 v51, v68, v88
	v_dual_add_f32 v49, v1, v5 :: v_dual_sub_f32 v30, v58, v70
	v_dual_sub_f32 v32, v0, v31 :: v_dual_sub_f32 v33, v1, v5
	v_fma_f32 v1, -0.5, v42, v7
	v_add_f32_e32 v48, v0, v31
	v_sub_f32_e32 v31, v61, v71
	v_fma_f32 v5, -0.5, v46, v6
	v_sub_f32_e32 v52, v37, v64
	v_dual_sub_f32 v54, v60, v66 :: v_dual_sub_f32 v53, v74, v65
	v_sub_f32_e32 v55, v62, v69
	ds_store_b128 v205, v[48:51] offset:32
	ds_store_b128 v205, v[52:55] offset:48
	;; [unrolled: 1-line block ×3, first 2 shown]
	v_fmamk_f32 v30, v21, 0xbf737871, v5
	v_fmac_f32_e32 v5, 0x3f737871, v21
	v_fmac_f32_e32 v7, -0.5, v47
	v_fma_f32 v33, -0.5, v40, v6
	v_add_f32_e32 v0, v41, v85
	v_fmac_f32_e32 v30, 0x3f167918, v27
	v_fmac_f32_e32 v5, 0xbf167918, v27
	v_fmamk_f32 v31, v22, 0x3f737871, v7
	v_fmac_f32_e32 v7, 0xbf737871, v22
	v_add_co_u32 v32, null, 0xa0, v191
	s_delay_alu instid0(VALU_DEP_4)
	v_fmac_f32_e32 v5, 0x3e9e377a, v0
	v_fmac_f32_e32 v30, 0x3e9e377a, v0
	v_fmamk_f32 v0, v27, 0x3f737871, v33
	v_fmac_f32_e32 v33, 0xbf737871, v27
	v_fmac_f32_e32 v7, 0x3f167918, v26
	;; [unrolled: 1-line block ×3, first 2 shown]
	v_mul_f32_e32 v36, 0xbe9e377a, v5
	v_fmac_f32_e32 v0, 0x3f167918, v21
	v_fmac_f32_e32 v33, 0xbf167918, v21
	v_add_f32_e32 v6, v13, v25
	v_fma_f32 v25, -0.5, v14, v3
	v_dual_add_f32 v4, v43, v86 :: v_dual_fmac_f32 v3, -0.5, v19
	s_delay_alu instid0(VALU_DEP_2) | instskip(SKIP_1) | instid1(VALU_DEP_3)
	v_dual_fmamk_f32 v19, v8, 0xbf737871, v18 :: v_dual_fmamk_f32 v40, v11, 0xbf737871, v25
	v_fmac_f32_e32 v25, 0x3f737871, v11
	v_fmac_f32_e32 v7, 0x3e9e377a, v4
	;; [unrolled: 1-line block ×3, first 2 shown]
	v_fmamk_f32 v4, v26, 0xbf737871, v1
	v_fmac_f32_e32 v1, 0x3f737871, v26
	v_fmac_f32_e32 v25, 0x3f167918, v9
	v_mul_f32_e32 v37, 0xbe9e377a, v7
	v_mul_f32_e32 v39, 0x3f737871, v31
	v_fmac_f32_e32 v4, 0xbf167918, v22
	v_dual_fmac_f32 v1, 0x3f167918, v22 :: v_dual_add_f32 v28, v38, v44
	v_fmac_f32_e32 v25, 0x3e9e377a, v17
	v_fmac_f32_e32 v36, 0x3f737871, v7
	s_delay_alu instid0(VALU_DEP_4) | instskip(NEXT) | instid1(VALU_DEP_4)
	v_fmac_f32_e32 v4, 0x3e9e377a, v29
	v_dual_fmac_f32 v1, 0x3e9e377a, v29 :: v_dual_fmac_f32 v0, 0x3e9e377a, v28
	v_dual_add_f32 v7, v15, v24 :: v_dual_fmamk_f32 v24, v9, 0x3f737871, v3
	v_fmac_f32_e32 v3, 0xbf737871, v9
	v_fmac_f32_e32 v39, 0x3e9e377a, v30
	s_delay_alu instid0(VALU_DEP_4)
	v_mul_f32_e32 v38, 0x3f4f1bbd, v0
	v_mul_f32_e32 v0, 0xbf167918, v0
	;; [unrolled: 1-line block ×3, first 2 shown]
	v_fmac_f32_e32 v3, 0x3f167918, v11
	v_fmac_f32_e32 v40, 0xbf167918, v9
	;; [unrolled: 1-line block ×4, first 2 shown]
	v_mul_u32_u24_e32 v4, 10, v32
	v_fmac_f32_e32 v30, 0x3e9e377a, v31
	v_fmamk_f32 v31, v10, 0x3f737871, v2
	v_fmac_f32_e32 v2, 0xbf737871, v10
	v_fmac_f32_e32 v33, 0x3e9e377a, v28
	v_dual_add_f32 v4, v20, v34 :: v_dual_lshlrev_b32 v203, 3, v4
	v_mul_f32_e32 v9, 0xbf4f1bbd, v1
	v_fmac_f32_e32 v24, 0xbf167918, v11
	v_fmac_f32_e32 v3, 0x3e9e377a, v7
	;; [unrolled: 1-line block ×7, first 2 shown]
	v_mul_f32_e32 v8, 0xbf4f1bbd, v33
	v_fmac_f32_e32 v19, 0x3f167918, v10
	v_add_f32_e32 v15, v3, v37
	v_dual_fmac_f32 v31, 0x3e9e377a, v16 :: v_dual_fmac_f32 v40, 0x3e9e377a, v17
	s_delay_alu instid0(VALU_DEP_4) | instskip(SKIP_4) | instid1(VALU_DEP_3)
	v_fmac_f32_e32 v8, 0x3f167918, v1
	v_sub_f32_e32 v1, v3, v37
	v_dual_sub_f32 v3, v25, v9 :: v_dual_fmac_f32 v18, 0xbf167918, v10
	v_dual_fmac_f32 v19, 0x3e9e377a, v6 :: v_dual_fmac_f32 v24, 0x3e9e377a, v7
	v_add_f32_e32 v5, v23, v35
	v_dual_add_f32 v7, v40, v0 :: v_dual_fmac_f32 v18, 0x3e9e377a, v6
	v_add_f32_e32 v6, v31, v38
	v_fmac_f32_e32 v2, 0x3e9e377a, v16
	v_dual_add_f32 v12, v19, v39 :: v_dual_add_f32 v13, v24, v30
	s_delay_alu instid0(VALU_DEP_4)
	v_add_f32_e32 v14, v18, v36
	ds_store_b128 v203, v[4:7]
	ds_store_b128 v203, v[12:15] offset:16
	v_dual_sub_f32 v6, v20, v34 :: v_dual_sub_f32 v7, v23, v35
	v_sub_f32_e32 v13, v40, v0
	v_dual_add_f32 v4, v2, v8 :: v_dual_add_f32 v5, v25, v9
	v_sub_f32_e32 v0, v18, v36
	v_sub_f32_e32 v2, v2, v8
	;; [unrolled: 1-line block ×3, first 2 shown]
	v_dual_sub_f32 v14, v19, v39 :: v_dual_sub_f32 v15, v24, v30
	ds_store_b128 v203, v[4:7] offset:32
	ds_store_b128 v203, v[12:15] offset:48
	;; [unrolled: 1-line block ×3, first 2 shown]
	v_and_b32_e32 v0, 0xff, v72
	v_and_b32_e32 v1, 0xffff, v32
	global_wb scope:SCOPE_SE
	s_wait_dscnt 0x0
	s_barrier_signal -1
	s_barrier_wait -1
	v_mul_lo_u16 v0, 0xcd, v0
	v_mul_u32_u24_e32 v1, 0xcccd, v1
	global_inv scope:SCOPE_SE
	ds_load_2addr_b64 v[8:11], v201 offset0:64 offset1:224
	v_lshrrev_b16 v54, 11, v0
	v_lshrrev_b32_e32 v33, 19, v1
	s_delay_alu instid0(VALU_DEP_2) | instskip(NEXT) | instid1(VALU_DEP_2)
	v_mul_lo_u16 v0, v54, 10
	v_mul_lo_u16 v1, v33, 10
	v_and_b32_e32 v54, 0xffff, v54
	s_delay_alu instid0(VALU_DEP_3) | instskip(NEXT) | instid1(VALU_DEP_3)
	v_sub_nc_u16 v0, v72, v0
	v_sub_nc_u16 v34, v32, v1
	s_delay_alu instid0(VALU_DEP_3) | instskip(NEXT) | instid1(VALU_DEP_3)
	v_mul_u32_u24_e32 v54, 0x64, v54
	v_and_b32_e32 v53, 0xff, v0
	s_delay_alu instid0(VALU_DEP_3) | instskip(SKIP_1) | instid1(VALU_DEP_3)
	v_mul_lo_u16 v0, 0x48, v34
	v_mad_u16 v33, 0x64, v33, v34
	v_mad_co_u64_u32 v[16:17], null, 0x48, v53, s[10:11]
	s_delay_alu instid0(VALU_DEP_3) | instskip(SKIP_1) | instid1(VALU_DEP_4)
	v_and_b32_e32 v0, 0xffff, v0
	v_add_lshl_u32 v202, v54, v53, 3
	v_and_b32_e32 v33, 0xffff, v33
	s_delay_alu instid0(VALU_DEP_3)
	v_add_co_u32 v69, s2, s10, v0
	s_clause 0x1
	global_load_b128 v[0:3], v[16:17], off
	global_load_b128 v[4:7], v[16:17], off offset:16
	s_wait_alu 0xf1ff
	v_add_co_ci_u32_e64 v70, null, s11, 0, s2
	s_clause 0x1
	global_load_b64 v[145:146], v[16:17], off offset:64
	global_load_b128 v[28:31], v[69:70], off
	v_lshlrev_b32_e32 v204, 3, v33
	s_wait_loadcnt_dscnt 0x300
	v_mul_f32_e32 v12, v9, v1
	v_mul_f32_e32 v56, v8, v1
	s_delay_alu instid0(VALU_DEP_2) | instskip(SKIP_4) | instid1(VALU_DEP_3)
	v_fma_f32 v55, v8, v0, -v12
	s_wait_loadcnt 0x0
	v_mul_f32_e32 v8, v11, v29
	v_mul_f32_e32 v36, v10, v29
	v_fmac_f32_e32 v56, v9, v0
	v_fma_f32 v35, v10, v28, -v8
	s_delay_alu instid0(VALU_DEP_3)
	v_fmac_f32_e32 v36, v11, v28
	ds_load_2addr_b64 v[8:11], v194 offset1:160
	s_wait_dscnt 0x0
	v_mul_f32_e32 v12, v9, v3
	v_mul_f32_e32 v57, v8, v3
	;; [unrolled: 1-line block ×3, first 2 shown]
	s_delay_alu instid0(VALU_DEP_3) | instskip(NEXT) | instid1(VALU_DEP_3)
	v_fma_f32 v58, v8, v2, -v12
	v_dual_fmac_f32 v57, v9, v2 :: v_dual_mul_f32 v8, v11, v31
	s_delay_alu instid0(VALU_DEP_3) | instskip(NEXT) | instid1(VALU_DEP_2)
	v_fmac_f32_e32 v38, v11, v30
	v_fma_f32 v39, v10, v30, -v8
	ds_load_2addr_b64 v[8:11], v200 offset0:64 offset1:224
	s_wait_dscnt 0x0
	v_mul_f32_e32 v12, v9, v5
	v_mul_f32_e32 v59, v8, v5
	s_delay_alu instid0(VALU_DEP_2) | instskip(SKIP_4) | instid1(VALU_DEP_1)
	v_fma_f32 v60, v8, v4, -v12
	s_clause 0x1
	global_load_b128 v[20:23], v[69:70], off offset:16
	global_load_b128 v[12:15], v[69:70], off offset:32
	v_fmac_f32_e32 v59, v9, v4
	v_dual_add_f32 v78, v55, v60 :: v_dual_add_f32 v79, v56, v59
	s_wait_loadcnt 0x1
	v_mul_f32_e32 v8, v11, v21
	v_mul_f32_e32 v37, v10, v21
	s_delay_alu instid0(VALU_DEP_2) | instskip(NEXT) | instid1(VALU_DEP_2)
	v_fma_f32 v41, v10, v20, -v8
	v_fmac_f32_e32 v37, v11, v20
	ds_load_2addr_b64 v[8:11], v193 offset1:160
	s_wait_dscnt 0x0
	v_mul_f32_e32 v18, v9, v7
	v_mul_f32_e32 v61, v8, v7
	;; [unrolled: 1-line block ×3, first 2 shown]
	s_delay_alu instid0(VALU_DEP_3) | instskip(NEXT) | instid1(VALU_DEP_3)
	v_fma_f32 v62, v8, v6, -v18
	v_dual_fmac_f32 v61, v9, v6 :: v_dual_mul_f32 v8, v11, v23
	s_delay_alu instid0(VALU_DEP_3) | instskip(NEXT) | instid1(VALU_DEP_3)
	v_fmac_f32_e32 v42, v11, v22
	v_sub_f32_e32 v53, v58, v62
	s_delay_alu instid0(VALU_DEP_3)
	v_fma_f32 v43, v10, v22, -v8
	s_clause 0x1
	global_load_b128 v[24:27], v[16:17], off offset:32
	global_load_b128 v[8:11], v[16:17], off offset:48
	ds_load_2addr_b64 v[16:19], v199 offset0:64 offset1:224
	ds_load_2addr_b64 v[48:51], v198 offset0:64 offset1:224
	s_wait_loadcnt_dscnt 0x101
	v_dual_sub_f32 v34, v39, v43 :: v_dual_mul_f32 v63, v16, v25
	s_wait_loadcnt_dscnt 0x0
	v_mul_f32_e32 v67, v48, v9
	s_delay_alu instid0(VALU_DEP_2) | instskip(SKIP_1) | instid1(VALU_DEP_3)
	v_fmac_f32_e32 v63, v17, v24
	v_mul_f32_e32 v40, v17, v25
	v_fmac_f32_e32 v67, v49, v8
	s_delay_alu instid0(VALU_DEP_3) | instskip(NEXT) | instid1(VALU_DEP_3)
	v_add_f32_e32 v79, v79, v63
	v_fma_f32 v64, v16, v24, -v40
	v_mul_f32_e32 v16, v19, v13
	s_delay_alu instid0(VALU_DEP_4) | instskip(NEXT) | instid1(VALU_DEP_3)
	v_dual_mul_f32 v40, v18, v13 :: v_dual_sub_f32 v89, v63, v67
	v_dual_add_f32 v79, v79, v67 :: v_dual_add_f32 v78, v78, v64
	s_delay_alu instid0(VALU_DEP_3) | instskip(NEXT) | instid1(VALU_DEP_3)
	v_fma_f32 v45, v18, v12, -v16
	v_fmac_f32_e32 v40, v19, v12
	ds_load_2addr_b64 v[16:19], v196 offset1:160
	s_wait_dscnt 0x0
	v_mul_f32_e32 v65, v16, v27
	v_mul_f32_e32 v44, v17, v27
	s_delay_alu instid0(VALU_DEP_2) | instskip(NEXT) | instid1(VALU_DEP_2)
	v_dual_mul_f32 v46, v18, v15 :: v_dual_fmac_f32 v65, v17, v26
	v_fma_f32 v66, v16, v26, -v44
	s_delay_alu instid0(VALU_DEP_2) | instskip(NEXT) | instid1(VALU_DEP_3)
	v_fmac_f32_e32 v46, v19, v14
	v_sub_f32_e32 v96, v61, v65
	s_delay_alu instid0(VALU_DEP_3) | instskip(SKIP_1) | instid1(VALU_DEP_2)
	v_dual_mul_f32 v16, v19, v15 :: v_dual_sub_f32 v99, v62, v66
	v_add_f32_e32 v93, v61, v65
	v_fma_f32 v47, v18, v14, -v16
	v_mul_f32_e32 v16, v49, v9
	s_delay_alu instid0(VALU_DEP_1)
	v_fma_f32 v68, v48, v8, -v16
	s_clause 0x1
	global_load_b64 v[147:148], v[69:70], off offset:64
	global_load_b128 v[16:19], v[69:70], off offset:48
	ds_load_2addr_b64 v[73:76], v195 offset1:160
	s_wait_dscnt 0x0
	v_dual_sub_f32 v87, v64, v68 :: v_dual_mul_f32 v48, v74, v11
	v_mul_f32_e32 v69, v73, v11
	s_delay_alu instid0(VALU_DEP_2) | instskip(NEXT) | instid1(VALU_DEP_2)
	v_fma_f32 v70, v73, v10, -v48
	v_fmac_f32_e32 v69, v74, v10
	s_delay_alu instid0(VALU_DEP_1) | instskip(SKIP_3) | instid1(VALU_DEP_2)
	v_dual_sub_f32 v98, v58, v70 :: v_dual_sub_f32 v95, v57, v69
	s_wait_loadcnt 0x0
	v_mul_f32_e32 v44, v51, v17
	v_mul_f32_e32 v48, v76, v19
	v_fma_f32 v49, v50, v16, -v44
	v_mul_f32_e32 v44, v50, v17
	v_mul_f32_e32 v50, v75, v19
	s_delay_alu instid0(VALU_DEP_2) | instskip(SKIP_1) | instid1(VALU_DEP_3)
	v_fmac_f32_e32 v44, v51, v16
	v_fma_f32 v51, v75, v18, -v48
	v_fmac_f32_e32 v50, v76, v18
	ds_load_2addr_b64 v[74:77], v197 offset0:64 offset1:224
	s_wait_dscnt 0x0
	v_mul_f32_e32 v48, v75, v146
	v_mul_f32_e32 v71, v74, v146
	s_delay_alu instid0(VALU_DEP_2) | instskip(NEXT) | instid1(VALU_DEP_2)
	v_fma_f32 v73, v74, v145, -v48
	v_dual_mul_f32 v48, v77, v148 :: v_dual_fmac_f32 v71, v75, v145
	s_delay_alu instid0(VALU_DEP_1) | instskip(SKIP_1) | instid1(VALU_DEP_3)
	v_fma_f32 v52, v76, v147, -v48
	v_mul_f32_e32 v48, v76, v148
	v_sub_f32_e32 v88, v59, v71
	v_sub_f32_e32 v54, v70, v66
	v_dual_add_f32 v78, v78, v68 :: v_dual_add_f32 v103, v79, v71
	s_delay_alu instid0(VALU_DEP_4)
	v_fmac_f32_e32 v48, v77, v147
	ds_load_2addr_b64 v[74:77], v192 offset1:160
	v_add_f32_e32 v80, v53, v54
	v_sub_f32_e32 v53, v57, v61
	v_sub_f32_e32 v54, v69, v65
	v_add_f32_e32 v102, v78, v73
	global_wb scope:SCOPE_SE
	s_wait_dscnt 0x0
	s_barrier_signal -1
	s_barrier_wait -1
	v_add_f32_e32 v81, v53, v54
	v_sub_f32_e32 v53, v60, v64
	v_sub_f32_e32 v54, v73, v68
	global_inv scope:SCOPE_SE
	v_fma_f32 v93, -0.5, v93, v75
	v_sub_f32_e32 v86, v60, v73
	s_delay_alu instid0(VALU_DEP_2) | instskip(SKIP_3) | instid1(VALU_DEP_4)
	v_fmamk_f32 v100, v98, 0xbf737871, v93
	v_fmac_f32_e32 v93, 0x3f737871, v98
	v_dual_add_f32 v82, v53, v54 :: v_dual_sub_f32 v53, v59, v63
	v_sub_f32_e32 v54, v71, v67
	v_fmac_f32_e32 v100, 0xbf167918, v99
	s_delay_alu instid0(VALU_DEP_4) | instskip(NEXT) | instid1(VALU_DEP_3)
	v_fmac_f32_e32 v93, 0x3f167918, v99
	v_add_f32_e32 v83, v53, v54
	v_add_f32_e32 v53, v64, v68
	s_delay_alu instid0(VALU_DEP_3) | instskip(SKIP_2) | instid1(VALU_DEP_4)
	v_fmac_f32_e32 v93, 0x3e9e377a, v81
	v_fmac_f32_e32 v100, 0x3e9e377a, v81
	v_sub_f32_e32 v64, v64, v60
	v_fma_f32 v84, -0.5, v53, v55
	v_add_f32_e32 v53, v63, v67
	v_sub_f32_e32 v63, v63, v59
	v_add_f32_e32 v59, v59, v71
	s_delay_alu instid0(VALU_DEP_3) | instskip(NEXT) | instid1(VALU_DEP_1)
	v_fma_f32 v85, -0.5, v53, v56
	v_fmamk_f32 v53, v86, 0xbf737871, v85
	v_dual_fmac_f32 v85, 0x3f737871, v86 :: v_dual_fmamk_f32 v54, v88, 0x3f737871, v84
	v_fmac_f32_e32 v84, 0xbf737871, v88
	s_delay_alu instid0(VALU_DEP_3) | instskip(NEXT) | instid1(VALU_DEP_3)
	v_fmac_f32_e32 v53, 0xbf167918, v87
	v_dual_fmac_f32 v85, 0x3f167918, v87 :: v_dual_fmac_f32 v54, 0x3f167918, v89
	s_delay_alu instid0(VALU_DEP_3) | instskip(NEXT) | instid1(VALU_DEP_3)
	v_fmac_f32_e32 v84, 0xbf167918, v89
	v_fmac_f32_e32 v53, 0x3e9e377a, v83
	s_delay_alu instid0(VALU_DEP_3) | instskip(NEXT) | instid1(VALU_DEP_3)
	v_dual_fmac_f32 v85, 0x3e9e377a, v83 :: v_dual_fmac_f32 v54, 0x3e9e377a, v82
	v_fmac_f32_e32 v84, 0x3e9e377a, v82
	s_delay_alu instid0(VALU_DEP_3) | instskip(NEXT) | instid1(VALU_DEP_3)
	v_mul_f32_e32 v90, 0x3f167918, v53
	v_mul_f32_e32 v91, 0xbf167918, v54
	s_delay_alu instid0(VALU_DEP_2) | instskip(NEXT) | instid1(VALU_DEP_2)
	v_fmac_f32_e32 v90, 0x3f4f1bbd, v54
	v_dual_add_f32 v54, v62, v66 :: v_dual_fmac_f32 v91, 0x3f4f1bbd, v53
	v_add_f32_e32 v53, v74, v58
	s_delay_alu instid0(VALU_DEP_2) | instskip(NEXT) | instid1(VALU_DEP_2)
	v_fma_f32 v92, -0.5, v54, v74
	v_dual_add_f32 v54, v75, v57 :: v_dual_add_f32 v53, v53, v62
	s_delay_alu instid0(VALU_DEP_4) | instskip(NEXT) | instid1(VALU_DEP_2)
	v_add_f32_e32 v79, v100, v91
	v_dual_fmamk_f32 v97, v95, 0x3f737871, v92 :: v_dual_add_f32 v54, v54, v61
	s_delay_alu instid0(VALU_DEP_3) | instskip(SKIP_2) | instid1(VALU_DEP_4)
	v_add_f32_e32 v53, v53, v66
	v_sub_f32_e32 v61, v61, v57
	v_add_f32_e32 v57, v57, v69
	v_dual_fmac_f32 v97, 0x3f167918, v96 :: v_dual_add_f32 v54, v54, v65
	s_delay_alu instid0(VALU_DEP_4) | instskip(NEXT) | instid1(VALU_DEP_3)
	v_add_f32_e32 v94, v53, v70
	v_fma_f32 v57, -0.5, v57, v75
	s_delay_alu instid0(VALU_DEP_3) | instskip(NEXT) | instid1(VALU_DEP_4)
	v_fmac_f32_e32 v97, 0x3e9e377a, v80
	v_add_f32_e32 v101, v54, v69
	s_delay_alu instid0(VALU_DEP_4) | instskip(NEXT) | instid1(VALU_DEP_3)
	v_dual_add_f32 v53, v94, v102 :: v_dual_add_f32 v60, v60, v73
	v_dual_sub_f32 v75, v39, v51 :: v_dual_add_f32 v78, v97, v90
	s_delay_alu instid0(VALU_DEP_2)
	v_dual_add_f32 v54, v101, v103 :: v_dual_fmac_f32 v55, -0.5, v60
	ds_store_2addr_b64 v202, v[53:54], v[78:79] offset1:10
	v_sub_f32_e32 v53, v62, v58
	v_add_f32_e32 v54, v58, v70
	v_sub_f32_e32 v58, v66, v70
	v_sub_f32_e32 v62, v65, v69
	v_dual_sub_f32 v65, v68, v73 :: v_dual_sub_f32 v66, v67, v71
	s_delay_alu instid0(VALU_DEP_3) | instskip(NEXT) | instid1(VALU_DEP_3)
	v_add_f32_e32 v53, v53, v58
	v_add_f32_e32 v58, v61, v62
	v_fma_f32 v61, -0.5, v54, v74
	s_delay_alu instid0(VALU_DEP_1) | instskip(SKIP_1) | instid1(VALU_DEP_1)
	v_fmamk_f32 v62, v96, 0xbf737871, v61
	v_fmac_f32_e32 v61, 0x3f737871, v96
	v_dual_fmac_f32 v61, 0xbf167918, v95 :: v_dual_add_f32 v60, v64, v65
	v_dual_add_f32 v69, v42, v46 :: v_dual_fmac_f32 v56, -0.5, v59
	s_delay_alu instid0(VALU_DEP_4) | instskip(SKIP_1) | instid1(VALU_DEP_3)
	v_dual_fmac_f32 v62, 0x3f167918, v95 :: v_dual_sub_f32 v73, v42, v46
	v_add_f32_e32 v59, v63, v66
	v_fma_f32 v69, -0.5, v69, v77
	s_delay_alu instid0(VALU_DEP_4)
	v_fmamk_f32 v54, v87, 0x3f737871, v56
	v_fmac_f32_e32 v56, 0xbf737871, v87
	v_fmac_f32_e32 v62, 0x3e9e377a, v53
	;; [unrolled: 1-line block ×3, first 2 shown]
	v_fmamk_f32 v53, v89, 0xbf737871, v55
	v_fmac_f32_e32 v55, 0x3f737871, v89
	v_fmamk_f32 v79, v75, 0xbf737871, v69
	v_fmac_f32_e32 v56, 0x3f167918, v86
	;; [unrolled: 2-line block ×3, first 2 shown]
	v_fmac_f32_e32 v55, 0xbf167918, v88
	v_fmac_f32_e32 v53, 0x3f167918, v88
	;; [unrolled: 1-line block ×7, first 2 shown]
	v_mul_f32_e32 v64, 0xbe9e377a, v56
	s_delay_alu instid0(VALU_DEP_4) | instskip(NEXT) | instid1(VALU_DEP_4)
	v_dual_sub_f32 v78, v43, v47 :: v_dual_fmac_f32 v57, 0x3e9e377a, v58
	v_mul_f32_e32 v60, 0xbe9e377a, v55
	v_fmac_f32_e32 v63, 0xbf167918, v98
	s_delay_alu instid0(VALU_DEP_4) | instskip(NEXT) | instid1(VALU_DEP_4)
	v_fmac_f32_e32 v64, 0xbf737871, v55
	v_fmac_f32_e32 v79, 0xbf167918, v78
	v_fmac_f32_e32 v54, 0x3e9e377a, v59
	v_fmac_f32_e32 v60, 0x3f737871, v56
	s_delay_alu instid0(VALU_DEP_4) | instskip(SKIP_1) | instid1(VALU_DEP_4)
	v_dual_fmac_f32 v63, 0x3e9e377a, v58 :: v_dual_add_f32 v56, v57, v64
	v_mul_f32_e32 v59, 0xbf737871, v53
	v_mul_f32_e32 v58, 0x3f737871, v54
	v_fmac_f32_e32 v92, 0xbf737871, v95
	v_dual_mul_f32 v65, 0xbf4f1bbd, v84 :: v_dual_mul_f32 v66, 0xbf4f1bbd, v85
	s_delay_alu instid0(VALU_DEP_3) | instskip(NEXT) | instid1(VALU_DEP_3)
	v_dual_fmac_f32 v59, 0x3e9e377a, v54 :: v_dual_fmac_f32 v58, 0x3e9e377a, v53
	v_fmac_f32_e32 v92, 0xbf167918, v96
	v_add_f32_e32 v55, v61, v60
	s_delay_alu instid0(VALU_DEP_3) | instskip(NEXT) | instid1(VALU_DEP_3)
	v_dual_fmac_f32 v65, 0x3f167918, v85 :: v_dual_add_f32 v54, v63, v59
	v_dual_add_f32 v53, v62, v58 :: v_dual_fmac_f32 v92, 0x3e9e377a, v80
	v_dual_fmac_f32 v66, 0xbf167918, v84 :: v_dual_sub_f32 v71, v38, v50
	v_fmac_f32_e32 v69, 0x3f737871, v75
	ds_store_2addr_b64 v202, v[53:54], v[55:56] offset0:20 offset1:30
	v_dual_sub_f32 v53, v94, v102 :: v_dual_sub_f32 v54, v101, v103
	v_dual_add_f32 v55, v92, v65 :: v_dual_add_f32 v56, v93, v66
	ds_store_2addr_b64 v202, v[55:56], v[53:54] offset0:40 offset1:50
	v_dual_sub_f32 v53, v97, v90 :: v_dual_sub_f32 v54, v100, v91
	v_dual_sub_f32 v55, v62, v58 :: v_dual_sub_f32 v56, v63, v59
	v_sub_f32_e32 v63, v37, v48
	v_sub_f32_e32 v62, v45, v49
	ds_store_2addr_b64 v202, v[53:54], v[55:56] offset0:60 offset1:70
	v_sub_f32_e32 v53, v61, v60
	v_dual_sub_f32 v54, v57, v64 :: v_dual_sub_f32 v55, v92, v65
	v_sub_f32_e32 v64, v40, v44
	v_sub_f32_e32 v56, v93, v66
	;; [unrolled: 1-line block ×3, first 2 shown]
	ds_store_2addr_b64 v202, v[53:54], v[55:56] offset0:80 offset1:90
	v_sub_f32_e32 v53, v51, v47
	v_add_f32_e32 v54, v35, v41
	s_delay_alu instid0(VALU_DEP_2) | instskip(SKIP_2) | instid1(VALU_DEP_4)
	v_add_f32_e32 v55, v34, v53
	v_sub_f32_e32 v34, v38, v42
	v_sub_f32_e32 v53, v50, v46
	v_add_f32_e32 v54, v54, v45
	s_delay_alu instid0(VALU_DEP_2) | instskip(SKIP_2) | instid1(VALU_DEP_3)
	v_add_f32_e32 v56, v34, v53
	v_sub_f32_e32 v34, v41, v45
	v_sub_f32_e32 v53, v52, v49
	v_dual_add_f32 v54, v54, v49 :: v_dual_fmac_f32 v79, 0x3e9e377a, v56
	s_delay_alu instid0(VALU_DEP_2) | instskip(SKIP_1) | instid1(VALU_DEP_3)
	v_dual_add_f32 v57, v34, v53 :: v_dual_sub_f32 v34, v37, v40
	v_sub_f32_e32 v53, v48, v44
	v_add_f32_e32 v81, v54, v52
	s_delay_alu instid0(VALU_DEP_2) | instskip(SKIP_3) | instid1(VALU_DEP_3)
	v_add_f32_e32 v58, v34, v53
	v_add_f32_e32 v34, v45, v49
	v_sub_f32_e32 v45, v45, v41
	v_add_f32_e32 v41, v41, v52
	v_fma_f32 v59, -0.5, v34, v35
	s_delay_alu instid0(VALU_DEP_2) | instskip(NEXT) | instid1(VALU_DEP_2)
	v_dual_add_f32 v34, v40, v44 :: v_dual_fmac_f32 v35, -0.5, v41
	v_fmamk_f32 v53, v63, 0x3f737871, v59
	s_delay_alu instid0(VALU_DEP_2) | instskip(SKIP_1) | instid1(VALU_DEP_3)
	v_fma_f32 v60, -0.5, v34, v36
	v_fmac_f32_e32 v59, 0xbf737871, v63
	v_fmac_f32_e32 v53, 0x3f167918, v64
	s_delay_alu instid0(VALU_DEP_3) | instskip(NEXT) | instid1(VALU_DEP_3)
	v_fmamk_f32 v34, v61, 0xbf737871, v60
	v_fmac_f32_e32 v59, 0xbf167918, v64
	v_fmac_f32_e32 v60, 0x3f737871, v61
	s_delay_alu instid0(VALU_DEP_4) | instskip(NEXT) | instid1(VALU_DEP_4)
	v_fmac_f32_e32 v53, 0x3e9e377a, v57
	v_fmac_f32_e32 v34, 0xbf167918, v62
	s_delay_alu instid0(VALU_DEP_4) | instskip(NEXT) | instid1(VALU_DEP_3)
	v_fmac_f32_e32 v59, 0x3e9e377a, v57
	v_mul_f32_e32 v66, 0xbf167918, v53
	s_delay_alu instid0(VALU_DEP_3) | instskip(NEXT) | instid1(VALU_DEP_1)
	v_fmac_f32_e32 v34, 0x3e9e377a, v58
	v_mul_f32_e32 v65, 0x3f167918, v34
	s_delay_alu instid0(VALU_DEP_1) | instskip(SKIP_1) | instid1(VALU_DEP_1)
	v_fmac_f32_e32 v65, 0x3f4f1bbd, v53
	v_add_f32_e32 v53, v43, v47
	v_fma_f32 v67, -0.5, v53, v76
	s_delay_alu instid0(VALU_DEP_1) | instskip(SKIP_1) | instid1(VALU_DEP_2)
	v_dual_add_f32 v53, v77, v38 :: v_dual_fmamk_f32 v74, v71, 0x3f737871, v67
	v_fmac_f32_e32 v67, 0xbf737871, v71
	v_add_f32_e32 v53, v53, v42
	v_sub_f32_e32 v42, v42, v38
	v_add_f32_e32 v38, v38, v50
	v_fmac_f32_e32 v74, 0x3f167918, v73
	v_fmac_f32_e32 v67, 0xbf167918, v73
	v_dual_add_f32 v68, v36, v37 :: v_dual_fmac_f32 v69, 0x3f167918, v78
	s_delay_alu instid0(VALU_DEP_3) | instskip(NEXT) | instid1(VALU_DEP_3)
	v_dual_add_f32 v53, v53, v46 :: v_dual_fmac_f32 v74, 0x3e9e377a, v55
	v_fmac_f32_e32 v67, 0x3e9e377a, v55
	v_fmac_f32_e32 v66, 0x3f4f1bbd, v34
	v_add_f32_e32 v34, v76, v39
	v_add_f32_e32 v68, v68, v40
	v_dual_add_f32 v80, v53, v50 :: v_dual_add_f32 v53, v74, v65
	s_delay_alu instid0(VALU_DEP_4) | instskip(NEXT) | instid1(VALU_DEP_4)
	v_add_f32_e32 v54, v79, v66
	v_add_f32_e32 v34, v34, v43
	s_delay_alu instid0(VALU_DEP_4) | instskip(NEXT) | instid1(VALU_DEP_2)
	v_dual_add_f32 v68, v68, v44 :: v_dual_fmac_f32 v77, -0.5, v38
	v_add_f32_e32 v34, v34, v47
	s_delay_alu instid0(VALU_DEP_2) | instskip(NEXT) | instid1(VALU_DEP_2)
	v_add_f32_e32 v68, v68, v48
	v_add_f32_e32 v70, v34, v51
	s_delay_alu instid0(VALU_DEP_1)
	v_dual_add_f32 v34, v80, v68 :: v_dual_add_f32 v33, v70, v81
	ds_store_2addr_b64 v204, v[33:34], v[53:54] offset1:10
	v_add_f32_e32 v34, v39, v51
	v_sub_f32_e32 v33, v43, v39
	v_sub_f32_e32 v43, v46, v50
	v_dual_sub_f32 v39, v47, v51 :: v_dual_sub_f32 v46, v49, v52
	s_delay_alu instid0(VALU_DEP_4) | instskip(SKIP_1) | instid1(VALU_DEP_4)
	v_fma_f32 v41, -0.5, v34, v76
	v_sub_f32_e32 v34, v44, v48
	v_add_f32_e32 v38, v42, v43
	s_delay_alu instid0(VALU_DEP_4)
	v_add_f32_e32 v33, v33, v39
	v_add_f32_e32 v39, v45, v46
	v_fmamk_f32 v42, v73, 0xbf737871, v41
	v_fmac_f32_e32 v41, 0x3f737871, v73
	v_fmamk_f32 v43, v78, 0x3f737871, v77
	v_fmac_f32_e32 v77, 0xbf737871, v78
	v_mul_f32_e32 v44, 0xbf4f1bbd, v59
	v_fmac_f32_e32 v42, 0x3f167918, v71
	v_fmac_f32_e32 v41, 0xbf167918, v71
	;; [unrolled: 1-line block ×4, first 2 shown]
	s_delay_alu instid0(VALU_DEP_4) | instskip(NEXT) | instid1(VALU_DEP_4)
	v_fmac_f32_e32 v42, 0x3e9e377a, v33
	v_fmac_f32_e32 v41, 0x3e9e377a, v33
	v_add_f32_e32 v33, v37, v48
	v_fmac_f32_e32 v43, 0x3e9e377a, v38
	s_delay_alu instid0(VALU_DEP_2) | instskip(SKIP_3) | instid1(VALU_DEP_3)
	v_dual_fmac_f32 v77, 0x3e9e377a, v38 :: v_dual_fmac_f32 v36, -0.5, v33
	v_sub_f32_e32 v33, v40, v37
	v_fmamk_f32 v37, v64, 0xbf737871, v35
	v_fmac_f32_e32 v35, 0x3f737871, v64
	v_dual_add_f32 v33, v33, v34 :: v_dual_fmamk_f32 v34, v62, 0x3f737871, v36
	s_delay_alu instid0(VALU_DEP_2)
	v_fmac_f32_e32 v35, 0xbf167918, v63
	v_fmac_f32_e32 v36, 0xbf737871, v62
	;; [unrolled: 1-line block ×7, first 2 shown]
	s_delay_alu instid0(VALU_DEP_3) | instskip(NEXT) | instid1(VALU_DEP_3)
	v_dual_fmac_f32 v37, 0x3e9e377a, v39 :: v_dual_fmac_f32 v34, 0x3e9e377a, v33
	v_mul_f32_e32 v39, 0xbe9e377a, v35
	s_delay_alu instid0(VALU_DEP_3) | instskip(NEXT) | instid1(VALU_DEP_1)
	v_fmac_f32_e32 v36, 0x3e9e377a, v33
	v_dual_mul_f32 v38, 0x3f737871, v34 :: v_dual_fmac_f32 v39, 0x3f737871, v36
	v_fmac_f32_e32 v60, 0x3f167918, v62
	v_mul_f32_e32 v40, 0xbe9e377a, v36
	s_delay_alu instid0(VALU_DEP_3) | instskip(NEXT) | instid1(VALU_DEP_2)
	v_fmac_f32_e32 v38, 0x3e9e377a, v37
	v_dual_mul_f32 v37, 0xbf737871, v37 :: v_dual_fmac_f32 v40, 0xbf737871, v35
	s_delay_alu instid0(VALU_DEP_2) | instskip(NEXT) | instid1(VALU_DEP_2)
	v_add_f32_e32 v33, v42, v38
	v_fmac_f32_e32 v37, 0x3e9e377a, v34
	v_dual_fmac_f32 v60, 0x3e9e377a, v58 :: v_dual_add_f32 v35, v41, v39
	s_delay_alu instid0(VALU_DEP_4) | instskip(NEXT) | instid1(VALU_DEP_2)
	v_add_f32_e32 v36, v77, v40
	v_dual_add_f32 v34, v43, v37 :: v_dual_mul_f32 v45, 0xbf4f1bbd, v60
	v_fmac_f32_e32 v44, 0x3f167918, v60
	v_add_co_u32 v60, null, 0x140, v191
	ds_store_2addr_b64 v204, v[33:34], v[35:36] offset0:20 offset1:30
	v_fmac_f32_e32 v45, 0xbf167918, v59
	v_dual_sub_f32 v33, v70, v81 :: v_dual_sub_f32 v34, v80, v68
	s_delay_alu instid0(VALU_DEP_2)
	v_dual_add_f32 v35, v67, v44 :: v_dual_add_f32 v36, v69, v45
	ds_store_2addr_b64 v204, v[35:36], v[33:34] offset0:40 offset1:50
	v_dual_sub_f32 v33, v74, v65 :: v_dual_sub_f32 v34, v79, v66
	v_dual_sub_f32 v35, v42, v38 :: v_dual_sub_f32 v36, v43, v37
	ds_store_2addr_b64 v204, v[33:34], v[35:36] offset0:60 offset1:70
	v_sub_f32_e32 v34, v77, v40
	v_sub_f32_e32 v33, v41, v39
	v_dual_sub_f32 v35, v67, v44 :: v_dual_sub_f32 v36, v69, v45
	ds_store_2addr_b64 v204, v[33:34], v[35:36] offset0:80 offset1:90
	v_lshrrev_b16 v33, 2, v32
	global_wb scope:SCOPE_SE
	s_wait_dscnt 0x0
	s_barrier_signal -1
	s_barrier_wait -1
	global_inv scope:SCOPE_SE
	v_and_b32_e32 v33, 0xffff, v33
	s_delay_alu instid0(VALU_DEP_1) | instskip(NEXT) | instid1(VALU_DEP_1)
	v_mul_u32_u24_e32 v33, 0x147b, v33
	v_lshrrev_b32_e32 v52, 17, v33
	s_delay_alu instid0(VALU_DEP_1) | instskip(NEXT) | instid1(VALU_DEP_1)
	v_mul_lo_u16 v33, 0x64, v52
	v_sub_nc_u16 v53, v32, v33
	v_add_nc_u32_e32 v32, 0xffffff9c, v191
	s_delay_alu instid0(VALU_DEP_2) | instskip(NEXT) | instid1(VALU_DEP_2)
	v_mul_lo_u16 v34, v53, 24
	v_cndmask_b32_e32 v54, v32, v191, vcc_lo
	s_delay_alu instid0(VALU_DEP_2) | instskip(NEXT) | instid1(VALU_DEP_2)
	v_and_b32_e32 v34, 0xffff, v34
	v_mul_i32_i24_e32 v32, 24, v54
	v_mul_hi_i32_i24_e32 v33, 24, v54
	s_delay_alu instid0(VALU_DEP_3) | instskip(NEXT) | instid1(VALU_DEP_3)
	v_add_co_u32 v36, s2, s10, v34
	v_add_co_u32 v32, vcc_lo, s10, v32
	s_wait_alu 0xfffd
	s_delay_alu instid0(VALU_DEP_3)
	v_add_co_ci_u32_e32 v33, vcc_lo, s11, v33, vcc_lo
	s_clause 0x1
	global_load_b64 v[149:150], v[32:33], off offset:736
	global_load_b128 v[32:35], v[32:33], off offset:720
	ds_load_2addr_b64 v[38:41], v199 offset0:64 offset1:224
	s_wait_alu 0xf1ff
	v_add_co_ci_u32_e64 v37, null, s11, 0, s2
	v_cmp_lt_u16_e32 vcc_lo, 0x63, v72
	s_wait_loadcnt_dscnt 0x0
	v_mul_f32_e32 v42, v39, v35
	v_mul_f32_e32 v62, v38, v35
	s_delay_alu instid0(VALU_DEP_2) | instskip(NEXT) | instid1(VALU_DEP_2)
	v_fma_f32 v61, v38, v34, -v42
	v_fmac_f32_e32 v62, v39, v34
	s_clause 0x1
	global_load_b64 v[151:152], v[36:37], off offset:736
	global_load_b128 v[36:39], v[36:37], off offset:720
	s_wait_loadcnt 0x0
	v_mul_f32_e32 v42, v41, v39
	v_mul_f32_e32 v70, v40, v39
	s_delay_alu instid0(VALU_DEP_2) | instskip(SKIP_4) | instid1(VALU_DEP_1)
	v_fma_f32 v69, v40, v38, -v42
	v_lshrrev_b16 v40, 2, v60
	ds_load_2addr_b64 v[42:45], v200 offset0:64 offset1:224
	v_fmac_f32_e32 v70, v41, v38
	v_and_b32_e32 v40, 0xffff, v40
	v_mul_u32_u24_e32 v40, 0x147b, v40
	s_delay_alu instid0(VALU_DEP_1) | instskip(NEXT) | instid1(VALU_DEP_1)
	v_lshrrev_b32_e32 v71, 17, v40
	v_mul_lo_u16 v40, 0x64, v71
	s_wait_dscnt 0x0
	v_mul_f32_e32 v46, v43, v37
	v_mul_f32_e32 v75, v42, v37
	s_delay_alu instid0(VALU_DEP_3) | instskip(NEXT) | instid1(VALU_DEP_3)
	v_sub_nc_u16 v73, v60, v40
	v_fma_f32 v74, v42, v36, -v46
	s_delay_alu instid0(VALU_DEP_3) | instskip(NEXT) | instid1(VALU_DEP_3)
	v_fmac_f32_e32 v75, v43, v36
	v_mul_lo_u16 v40, v73, 24
	s_delay_alu instid0(VALU_DEP_1) | instskip(NEXT) | instid1(VALU_DEP_1)
	v_and_b32_e32 v40, 0xffff, v40
	v_add_co_u32 v40, s2, s10, v40
	s_wait_alu 0xf1ff
	v_add_co_ci_u32_e64 v41, null, s11, 0, s2
	s_clause 0x1
	global_load_b64 v[153:154], v[40:41], off offset:736
	global_load_b128 v[40:43], v[40:41], off offset:720
	s_wait_loadcnt 0x0
	v_mul_f32_e32 v46, v45, v41
	v_mul_f32_e32 v77, v44, v41
	s_delay_alu instid0(VALU_DEP_2) | instskip(NEXT) | instid1(VALU_DEP_2)
	v_fma_f32 v76, v44, v40, -v46
	v_fmac_f32_e32 v77, v45, v40
	ds_load_2addr_b64 v[44:47], v195 offset1:160
	s_wait_dscnt 0x0
	v_mul_f32_e32 v48, v45, v152
	v_mul_f32_e32 v79, v44, v152
	;; [unrolled: 1-line block ×3, first 2 shown]
	s_delay_alu instid0(VALU_DEP_3) | instskip(NEXT) | instid1(VALU_DEP_3)
	v_fma_f32 v78, v44, v151, -v48
	v_dual_mul_f32 v44, v47, v154 :: v_dual_fmac_f32 v79, v45, v151
	s_delay_alu instid0(VALU_DEP_3) | instskip(NEXT) | instid1(VALU_DEP_2)
	v_fmac_f32_e32 v81, v47, v153
	v_fma_f32 v80, v46, v153, -v44
	v_add_nc_u16 v44, v72, 0x1e0
	ds_load_2addr_b64 v[46:49], v196 offset1:160
	v_lshrrev_b16 v45, 2, v44
	s_delay_alu instid0(VALU_DEP_1) | instskip(NEXT) | instid1(VALU_DEP_1)
	v_and_b32_e32 v45, 0xffff, v45
	v_mul_u32_u24_e32 v45, 0x147b, v45
	s_delay_alu instid0(VALU_DEP_1) | instskip(SKIP_3) | instid1(VALU_DEP_3)
	v_lshrrev_b32_e32 v82, 17, v45
	s_wait_dscnt 0x0
	v_mul_f32_e32 v50, v47, v43
	v_mul_f32_e32 v85, v46, v43
	v_mul_lo_u16 v45, 0x64, v82
	s_delay_alu instid0(VALU_DEP_3) | instskip(NEXT) | instid1(VALU_DEP_3)
	v_fma_f32 v84, v46, v42, -v50
	v_fmac_f32_e32 v85, v47, v42
	s_delay_alu instid0(VALU_DEP_3) | instskip(NEXT) | instid1(VALU_DEP_1)
	v_sub_nc_u16 v83, v44, v45
	v_mul_lo_u16 v44, v83, 24
	s_delay_alu instid0(VALU_DEP_1) | instskip(NEXT) | instid1(VALU_DEP_1)
	v_and_b32_e32 v44, 0xffff, v44
	v_add_co_u32 v44, s2, s10, v44
	s_wait_alu 0xf1ff
	v_add_co_ci_u32_e64 v45, null, s11, 0, s2
	s_clause 0x1
	global_load_b64 v[157:158], v[44:45], off offset:736
	global_load_b128 v[44:47], v[44:45], off offset:720
	ds_load_2addr_b64 v[55:58], v193 offset1:160
	s_wait_loadcnt 0x0
	v_mul_f32_e32 v50, v49, v47
	v_mul_f32_e32 v87, v48, v47
	s_wait_dscnt 0x0
	v_mul_f32_e32 v91, v55, v45
	s_delay_alu instid0(VALU_DEP_3) | instskip(SKIP_2) | instid1(VALU_DEP_4)
	v_fma_f32 v86, v48, v46, -v50
	v_add_nc_u16 v48, v72, 0x280
	v_dual_fmac_f32 v87, v49, v46 :: v_dual_mul_f32 v50, v56, v45
	v_fmac_f32_e32 v91, v56, v44
	s_delay_alu instid0(VALU_DEP_3) | instskip(NEXT) | instid1(VALU_DEP_3)
	v_lshrrev_b16 v49, 2, v48
	v_fma_f32 v90, v55, v44, -v50
	s_delay_alu instid0(VALU_DEP_2) | instskip(NEXT) | instid1(VALU_DEP_1)
	v_and_b32_e32 v49, 0xffff, v49
	v_mul_u32_u24_e32 v49, 0x147b, v49
	s_delay_alu instid0(VALU_DEP_1) | instskip(NEXT) | instid1(VALU_DEP_1)
	v_lshrrev_b32_e32 v88, 17, v49
	v_mul_lo_u16 v49, 0x64, v88
	s_delay_alu instid0(VALU_DEP_1) | instskip(NEXT) | instid1(VALU_DEP_1)
	v_sub_nc_u16 v89, v48, v49
	v_mul_lo_u16 v48, v89, 24
	s_delay_alu instid0(VALU_DEP_1) | instskip(NEXT) | instid1(VALU_DEP_1)
	v_and_b32_e32 v48, 0xffff, v48
	v_add_co_u32 v48, s2, s10, v48
	s_wait_alu 0xf1ff
	v_add_co_ci_u32_e64 v49, null, s11, 0, s2
	s_clause 0x1
	global_load_b64 v[155:156], v[48:49], off offset:736
	global_load_b128 v[48:51], v[48:49], off offset:720
	s_add_nc_u64 s[2:3], s[8:9], 0x6400
	s_wait_loadcnt 0x0
	v_mul_f32_e32 v55, v58, v49
	v_mul_f32_e32 v93, v57, v49
	s_delay_alu instid0(VALU_DEP_2) | instskip(NEXT) | instid1(VALU_DEP_2)
	v_fma_f32 v92, v57, v48, -v55
	v_fmac_f32_e32 v93, v58, v48
	ds_load_2addr_b64 v[55:58], v198 offset0:64 offset1:224
	s_wait_dscnt 0x0
	v_mul_f32_e32 v59, v58, v150
	v_mul_f32_e32 v63, v57, v150
	;; [unrolled: 1-line block ×3, first 2 shown]
	s_delay_alu instid0(VALU_DEP_3) | instskip(SKIP_1) | instid1(VALU_DEP_4)
	v_fma_f32 v59, v57, v149, -v59
	v_mul_f32_e32 v57, v56, v51
	v_fmac_f32_e32 v63, v58, v149
	s_delay_alu instid0(VALU_DEP_4) | instskip(NEXT) | instid1(VALU_DEP_3)
	v_fmac_f32_e32 v95, v56, v50
	v_fma_f32 v94, v55, v50, -v57
	ds_load_2addr_b64 v[55:58], v197 offset0:64 offset1:224
	s_wait_dscnt 0x0
	v_mul_f32_e32 v64, v56, v158
	v_mul_f32_e32 v97, v55, v158
	;; [unrolled: 1-line block ×3, first 2 shown]
	s_delay_alu instid0(VALU_DEP_3) | instskip(SKIP_1) | instid1(VALU_DEP_4)
	v_fma_f32 v96, v55, v157, -v64
	v_mul_f32_e32 v55, v58, v156
	v_fmac_f32_e32 v97, v56, v157
	s_delay_alu instid0(VALU_DEP_4) | instskip(NEXT) | instid1(VALU_DEP_3)
	v_fmac_f32_e32 v99, v58, v155
	v_fma_f32 v98, v57, v155, -v55
	s_wait_alu 0xfffd
	v_cndmask_b32_e64 v55, 0, 0x190, vcc_lo
	v_cmp_gt_u16_e32 vcc_lo, 0x50, v72
	s_delay_alu instid0(VALU_DEP_2)
	v_add_lshl_u32 v214, v54, v55, 3
	ds_load_2addr_b64 v[54:57], v194 offset1:160
	v_add_nc_u32_e32 v102, 0x400, v214
	s_wait_dscnt 0x0
	v_mul_f32_e32 v58, v57, v33
	v_mul_f32_e32 v65, v56, v33
	s_delay_alu instid0(VALU_DEP_2) | instskip(NEXT) | instid1(VALU_DEP_1)
	v_fma_f32 v64, v56, v32, -v58
	v_dual_fmac_f32 v65, v57, v32 :: v_dual_sub_f32 v66, v64, v59
	ds_load_2addr_b64 v[56:59], v192 offset1:160
	v_sub_f32_e32 v63, v65, v63
	v_fma_f32 v64, v64, 2.0, -v66
	s_delay_alu instid0(VALU_DEP_2) | instskip(SKIP_2) | instid1(VALU_DEP_1)
	v_fma_f32 v67, v65, 2.0, -v63
	s_wait_dscnt 0x0
	v_dual_sub_f32 v61, v56, v61 :: v_dual_sub_f32 v62, v57, v62
	v_fma_f32 v100, v56, 2.0, -v61
	s_delay_alu instid0(VALU_DEP_2) | instskip(SKIP_1) | instid1(VALU_DEP_2)
	v_fma_f32 v101, v57, 2.0, -v62
	v_dual_sub_f32 v65, v61, v63 :: v_dual_add_f32 v66, v62, v66
	v_dual_sub_f32 v56, v100, v64 :: v_dual_sub_f32 v57, v101, v67
	s_delay_alu instid0(VALU_DEP_2) | instskip(NEXT) | instid1(VALU_DEP_3)
	v_fma_f32 v67, v61, 2.0, -v65
	v_fma_f32 v68, v62, 2.0, -v66
	ds_load_2addr_b64 v[61:64], v201 offset0:64 offset1:224
	global_wb scope:SCOPE_SE
	s_wait_dscnt 0x0
	s_barrier_signal -1
	s_barrier_wait -1
	global_inv scope:SCOPE_SE
	ds_store_2addr_b64 v102, v[56:57], v[65:66] offset0:72 offset1:172
	v_fma_f32 v56, v100, 2.0, -v56
	v_fma_f32 v57, v101, 2.0, -v57
	v_dual_sub_f32 v65, v58, v69 :: v_dual_sub_f32 v66, v59, v70
	v_mad_u16 v69, 0x190, v52, v53
	ds_store_2addr_b64 v214, v[56:57], v[67:68] offset1:100
	v_sub_f32_e32 v57, v74, v78
	v_fma_f32 v67, v58, 2.0, -v65
	v_sub_f32_e32 v56, v75, v79
	v_fma_f32 v68, v59, 2.0, -v66
	s_delay_alu instid0(VALU_DEP_4) | instskip(SKIP_1) | instid1(VALU_DEP_4)
	v_fma_f32 v58, v74, 2.0, -v57
	v_add_f32_e32 v57, v66, v57
	v_fma_f32 v59, v75, 2.0, -v56
	v_sub_f32_e32 v56, v65, v56
	s_delay_alu instid0(VALU_DEP_4) | instskip(NEXT) | instid1(VALU_DEP_4)
	v_sub_f32_e32 v58, v67, v58
	v_fma_f32 v53, v66, 2.0, -v57
	s_delay_alu instid0(VALU_DEP_4) | instskip(NEXT) | instid1(VALU_DEP_4)
	v_sub_f32_e32 v59, v68, v59
	v_fma_f32 v52, v65, 2.0, -v56
	s_delay_alu instid0(VALU_DEP_4) | instskip(SKIP_1) | instid1(VALU_DEP_4)
	v_fma_f32 v65, v67, 2.0, -v58
	v_and_b32_e32 v67, 0xffff, v69
	v_fma_f32 v66, v68, 2.0, -v59
	s_delay_alu instid0(VALU_DEP_2)
	v_lshlrev_b32_e32 v216, 3, v67
	ds_store_2addr_b64 v216, v[65:66], v[52:53] offset1:100
	v_add_nc_u32_e32 v52, 0x400, v216
	v_sub_f32_e32 v53, v76, v80
	v_mad_u16 v65, 0x190, v71, v73
	v_mad_co_u64_u32 v[70:71], null, v191, 24, s[10:11]
	scratch_store_b32 off, v52, off offset:20 ; 4-byte Folded Spill
	ds_store_2addr_b64 v52, v[58:59], v[56:57] offset0:72 offset1:172
	v_sub_f32_e32 v52, v77, v81
	v_dual_sub_f32 v58, v61, v84 :: v_dual_sub_f32 v59, v62, v85
	v_fma_f32 v56, v76, 2.0, -v53
	v_and_b32_e32 v65, 0xffff, v65
	s_delay_alu instid0(VALU_DEP_4) | instskip(NEXT) | instid1(VALU_DEP_4)
	v_fma_f32 v57, v77, 2.0, -v52
	v_fma_f32 v61, v61, 2.0, -v58
	;; [unrolled: 1-line block ×3, first 2 shown]
	v_dual_sub_f32 v52, v58, v52 :: v_dual_add_f32 v53, v59, v53
	v_lshlrev_b32_e32 v190, 3, v65
	s_delay_alu instid0(VALU_DEP_3) | instskip(NEXT) | instid1(VALU_DEP_3)
	v_dual_sub_f32 v56, v61, v56 :: v_dual_sub_f32 v57, v62, v57
	v_fma_f32 v58, v58, 2.0, -v52
	s_delay_alu instid0(VALU_DEP_4) | instskip(NEXT) | instid1(VALU_DEP_3)
	v_fma_f32 v59, v59, 2.0, -v53
	v_fma_f32 v61, v61, 2.0, -v56
	s_delay_alu instid0(VALU_DEP_4)
	v_fma_f32 v62, v62, 2.0, -v57
	ds_store_2addr_b64 v190, v[61:62], v[58:59] offset1:100
	v_dual_sub_f32 v59, v64, v87 :: v_dual_add_nc_u32 v58, 0x400, v190
	scratch_store_b32 off, v58, off offset:16 ; 4-byte Folded Spill
	ds_store_2addr_b64 v58, v[56:57], v[52:53] offset0:72 offset1:172
	v_dual_sub_f32 v58, v63, v86 :: v_dual_sub_f32 v53, v90, v96
	v_sub_f32_e32 v52, v91, v97
	v_fma_f32 v62, v64, 2.0, -v59
	s_delay_alu instid0(VALU_DEP_3) | instskip(NEXT) | instid1(VALU_DEP_4)
	v_fma_f32 v61, v63, 2.0, -v58
	v_fma_f32 v56, v90, 2.0, -v53
	s_delay_alu instid0(VALU_DEP_4) | instskip(SKIP_2) | instid1(VALU_DEP_3)
	v_fma_f32 v57, v91, 2.0, -v52
	v_mad_u16 v63, 0x190, v82, v83
	v_dual_sub_f32 v52, v58, v52 :: v_dual_add_f32 v53, v59, v53
	v_dual_sub_f32 v56, v61, v56 :: v_dual_sub_f32 v57, v62, v57
	s_delay_alu instid0(VALU_DEP_3) | instskip(NEXT) | instid1(VALU_DEP_3)
	v_and_b32_e32 v63, 0xffff, v63
	v_fma_f32 v58, v58, 2.0, -v52
	s_delay_alu instid0(VALU_DEP_4) | instskip(NEXT) | instid1(VALU_DEP_4)
	v_fma_f32 v59, v59, 2.0, -v53
	v_fma_f32 v61, v61, 2.0, -v56
	;; [unrolled: 1-line block ×3, first 2 shown]
	v_lshlrev_b32_e32 v207, 3, v63
	ds_store_2addr_b64 v207, v[61:62], v[58:59] offset1:100
	v_add_nc_u32_e32 v58, 0x400, v207
	v_mad_u16 v61, 0x190, v88, v89
	ds_store_2addr_b64 v58, v[56:57], v[52:53] offset0:72 offset1:172
	v_dual_sub_f32 v56, v54, v94 :: v_dual_sub_f32 v57, v55, v95
	v_dual_sub_f32 v53, v92, v98 :: v_dual_sub_f32 v52, v93, v99
	scratch_store_b32 off, v58, off offset:12 ; 4-byte Folded Spill
	v_fma_f32 v58, v54, 2.0, -v56
	v_fma_f32 v59, v55, 2.0, -v57
	;; [unrolled: 1-line block ×4, first 2 shown]
	v_dual_sub_f32 v52, v56, v52 :: v_dual_add_f32 v53, v57, v53
	s_delay_alu instid0(VALU_DEP_3) | instskip(NEXT) | instid1(VALU_DEP_3)
	v_dual_sub_f32 v54, v58, v54 :: v_dual_and_b32 v61, 0xffff, v61
	v_sub_f32_e32 v55, v59, v55
	s_delay_alu instid0(VALU_DEP_3) | instskip(NEXT) | instid1(VALU_DEP_4)
	v_fma_f32 v56, v56, 2.0, -v52
	v_fma_f32 v57, v57, 2.0, -v53
	s_delay_alu instid0(VALU_DEP_4)
	v_lshlrev_b32_e32 v215, 3, v61
	v_fma_f32 v58, v58, 2.0, -v54
	v_fma_f32 v59, v59, 2.0, -v55
	ds_store_2addr_b64 v215, v[58:59], v[56:57] offset1:100
	v_add_nc_u32_e32 v56, 0x400, v215
	s_clause 0x1
	scratch_store_b32 off, v102, off offset:24
	scratch_store_b32 off, v56, off offset:8
	ds_store_2addr_b64 v56, v[54:55], v[52:53] offset0:72 offset1:172
	global_wb scope:SCOPE_SE
	s_wait_storecnt_dscnt 0x0
	s_barrier_signal -1
	s_barrier_wait -1
	global_inv scope:SCOPE_SE
	s_clause 0x1
	global_load_b64 v[161:162], v[70:71], off offset:3136
	global_load_b128 v[52:55], v[70:71], off offset:3120
	ds_load_2addr_b64 v[61:64], v199 offset0:64 offset1:224
	s_wait_loadcnt_dscnt 0x0
	v_mul_f32_e32 v56, v62, v55
	v_mul_f32_e32 v78, v61, v55
	s_delay_alu instid0(VALU_DEP_2)
	v_fma_f32 v77, v61, v54, -v56
	s_clause 0x1
	global_load_b64 v[185:186], v[70:71], off offset:6976
	global_load_b128 v[56:59], v[70:71], off offset:6960
	s_wait_loadcnt 0x0
	v_dual_fmac_f32 v78, v62, v54 :: v_dual_mul_f32 v61, v64, v59
	v_mul_f32_e32 v80, v63, v59
	s_delay_alu instid0(VALU_DEP_2) | instskip(NEXT) | instid1(VALU_DEP_2)
	v_fma_f32 v79, v63, v58, -v61
	v_fmac_f32_e32 v80, v64, v58
	ds_load_2addr_b64 v[62:65], v200 offset0:64 offset1:224
	v_add_nc_u32_e32 v61, 0xffffffb0, v191
	s_wait_alu 0xfffd
	s_delay_alu instid0(VALU_DEP_1) | instskip(NEXT) | instid1(VALU_DEP_1)
	v_cndmask_b32_e32 v85, v61, v60, vcc_lo
	v_mul_i32_i24_e32 v60, 24, v85
	v_mul_hi_i32_i24_e32 v61, 24, v85
	s_delay_alu instid0(VALU_DEP_2) | instskip(SKIP_1) | instid1(VALU_DEP_2)
	v_add_co_u32 v60, vcc_lo, s10, v60
	s_wait_alu 0xfffd
	v_add_co_ci_u32_e32 v61, vcc_lo, s11, v61, vcc_lo
	s_wait_dscnt 0x0
	v_mul_f32_e32 v66, v63, v57
	v_mul_f32_e32 v87, v62, v57
	v_cmp_lt_u16_e32 vcc_lo, 0x4f, v72
	s_delay_alu instid0(VALU_DEP_3) | instskip(NEXT) | instid1(VALU_DEP_3)
	v_fma_f32 v86, v62, v56, -v66
	v_fmac_f32_e32 v87, v63, v56
	s_clause 0x1
	global_load_b64 v[183:184], v[60:61], off offset:3136
	global_load_b128 v[60:63], v[60:61], off offset:3120
	s_wait_alu 0xfffd
	v_cndmask_b32_e64 v72, 0, 0x640, vcc_lo
	s_delay_alu instid0(VALU_DEP_1) | instskip(SKIP_3) | instid1(VALU_DEP_2)
	v_add_lshl_u32 v218, v85, v72, 3
	s_wait_loadcnt 0x0
	v_mul_f32_e32 v66, v65, v61
	v_mul_f32_e32 v89, v64, v61
	v_fma_f32 v88, v64, v60, -v66
	s_delay_alu instid0(VALU_DEP_2) | instskip(SKIP_4) | instid1(VALU_DEP_2)
	v_fmac_f32_e32 v89, v65, v60
	ds_load_2addr_b64 v[64:67], v195 offset1:160
	s_wait_dscnt 0x0
	v_mul_f32_e32 v91, v64, v186
	v_mul_f32_e32 v93, v66, v184
	v_fmac_f32_e32 v91, v65, v185
	s_delay_alu instid0(VALU_DEP_2) | instskip(NEXT) | instid1(VALU_DEP_2)
	v_dual_mul_f32 v68, v65, v186 :: v_dual_fmac_f32 v93, v67, v183
	v_sub_f32_e32 v91, v87, v91
	s_delay_alu instid0(VALU_DEP_2) | instskip(SKIP_1) | instid1(VALU_DEP_2)
	v_fma_f32 v90, v64, v185, -v68
	v_mul_f32_e32 v64, v67, v184
	v_sub_f32_e32 v90, v86, v90
	s_delay_alu instid0(VALU_DEP_2) | instskip(SKIP_4) | instid1(VALU_DEP_2)
	v_fma_f32 v92, v66, v183, -v64
	ds_load_2addr_b64 v[66:69], v196 offset1:160
	s_wait_dscnt 0x0
	v_mul_f32_e32 v64, v67, v63
	v_mul_f32_e32 v95, v66, v63
	v_fma_f32 v94, v66, v62, -v64
	s_delay_alu instid0(VALU_DEP_2)
	v_fmac_f32_e32 v95, v67, v62
	s_clause 0x1
	global_load_b64 v[187:188], v[70:71], off offset:5056
	global_load_b128 v[64:67], v[70:71], off offset:5040
	s_wait_loadcnt 0x0
	v_mul_f32_e32 v73, v69, v67
	v_mul_f32_e32 v97, v68, v67
	s_delay_alu instid0(VALU_DEP_2) | instskip(SKIP_4) | instid1(VALU_DEP_2)
	v_fma_f32 v96, v68, v66, -v73
	ds_load_2addr_b64 v[73:76], v193 offset1:160
	s_wait_dscnt 0x0
	v_dual_fmac_f32 v97, v69, v66 :: v_dual_mul_f32 v68, v74, v65
	v_mul_f32_e32 v99, v73, v65
	v_fma_f32 v98, v73, v64, -v68
	s_clause 0x1
	global_load_b64 v[181:182], v[70:71], off offset:8896
	global_load_b128 v[68:71], v[70:71], off offset:8880
	v_fmac_f32_e32 v99, v74, v64
	s_wait_loadcnt 0x0
	v_mul_f32_e32 v73, v76, v69
	v_mul_f32_e32 v101, v75, v69
	s_delay_alu instid0(VALU_DEP_2) | instskip(NEXT) | instid1(VALU_DEP_2)
	v_fma_f32 v100, v75, v68, -v73
	v_fmac_f32_e32 v101, v76, v68
	ds_load_2addr_b64 v[73:76], v198 offset0:64 offset1:224
	s_wait_dscnt 0x0
	v_mul_f32_e32 v81, v76, v162
	v_dual_mul_f32 v82, v75, v162 :: v_dual_mul_f32 v103, v73, v71
	s_delay_alu instid0(VALU_DEP_2) | instskip(NEXT) | instid1(VALU_DEP_2)
	v_fma_f32 v81, v75, v161, -v81
	v_dual_mul_f32 v75, v74, v71 :: v_dual_fmac_f32 v82, v76, v161
	s_delay_alu instid0(VALU_DEP_3) | instskip(NEXT) | instid1(VALU_DEP_2)
	v_fmac_f32_e32 v103, v74, v70
	v_fma_f32 v102, v73, v70, -v75
	ds_load_2addr_b64 v[73:76], v197 offset0:64 offset1:224
	s_wait_dscnt 0x0
	v_mul_f32_e32 v83, v74, v188
	v_mul_f32_e32 v160, v73, v188
	v_mul_f32_e32 v164, v75, v182
	s_delay_alu instid0(VALU_DEP_3) | instskip(NEXT) | instid1(VALU_DEP_3)
	v_fma_f32 v159, v73, v187, -v83
	v_dual_mul_f32 v73, v76, v182 :: v_dual_fmac_f32 v160, v74, v187
	s_delay_alu instid0(VALU_DEP_3) | instskip(NEXT) | instid1(VALU_DEP_2)
	v_fmac_f32_e32 v164, v76, v181
	v_fma_f32 v163, v75, v181, -v73
	ds_load_2addr_b64 v[73:76], v192 offset1:160
	s_wait_dscnt 0x0
	v_dual_sub_f32 v77, v73, v77 :: v_dual_sub_f32 v78, v74, v78
	v_dual_sub_f32 v165, v75, v79 :: v_dual_sub_f32 v166, v76, v80
	s_delay_alu instid0(VALU_DEP_2) | instskip(NEXT) | instid1(VALU_DEP_3)
	v_fma_f32 v167, v73, 2.0, -v77
	v_fma_f32 v168, v74, 2.0, -v78
	s_delay_alu instid0(VALU_DEP_3) | instskip(NEXT) | instid1(VALU_DEP_4)
	v_fma_f32 v169, v75, 2.0, -v165
	v_fma_f32 v170, v76, 2.0, -v166
	ds_load_2addr_b64 v[73:76], v194 offset1:160
	s_wait_dscnt 0x0
	v_mul_f32_e32 v79, v76, v53
	s_delay_alu instid0(VALU_DEP_1) | instskip(SKIP_1) | instid1(VALU_DEP_1)
	v_fma_f32 v79, v75, v52, -v79
	v_mul_f32_e32 v75, v75, v53
	v_dual_fmac_f32 v75, v76, v52 :: v_dual_sub_f32 v76, v79, v81
	s_delay_alu instid0(VALU_DEP_1) | instskip(NEXT) | instid1(VALU_DEP_2)
	v_sub_f32_e32 v81, v75, v82
	v_fma_f32 v83, v79, 2.0, -v76
	s_delay_alu instid0(VALU_DEP_2) | instskip(SKIP_1) | instid1(VALU_DEP_2)
	v_dual_add_f32 v80, v78, v76 :: v_dual_sub_f32 v79, v77, v81
	v_fma_f32 v75, v75, 2.0, -v81
	v_fma_f32 v82, v78, 2.0, -v80
	s_delay_alu instid0(VALU_DEP_4) | instskip(NEXT) | instid1(VALU_DEP_4)
	v_sub_f32_e32 v83, v167, v83
	v_fma_f32 v81, v77, 2.0, -v79
	s_delay_alu instid0(VALU_DEP_4)
	v_sub_f32_e32 v84, v168, v75
	ds_load_2addr_b64 v[75:78], v201 offset0:64 offset1:224
	global_wb scope:SCOPE_SE
	s_wait_dscnt 0x0
	s_barrier_signal -1
	s_barrier_wait -1
	global_inv scope:SCOPE_SE
	ds_store_b64 v192, v[81:82] offset:3200
	ds_store_b64 v192, v[79:80] offset:9600
	v_fma_f32 v81, v86, 2.0, -v90
	v_fma_f32 v82, v87, 2.0, -v91
	;; [unrolled: 1-line block ×4, first 2 shown]
	ds_store_b64 v192, v[83:84] offset:6400
	v_dual_sub_f32 v81, v169, v81 :: v_dual_sub_f32 v82, v170, v82
	s_delay_alu instid0(VALU_DEP_1) | instskip(NEXT) | instid1(VALU_DEP_2)
	v_fma_f32 v83, v169, 2.0, -v81
	v_fma_f32 v84, v170, 2.0, -v82
	ds_store_2addr_b64 v192, v[79:80], v[83:84] offset1:160
	v_dual_sub_f32 v83, v77, v96 :: v_dual_sub_f32 v84, v78, v97
	v_dual_sub_f32 v96, v73, v102 :: v_dual_sub_f32 v97, v74, v103
	;; [unrolled: 1-line block ×3, first 2 shown]
	s_delay_alu instid0(VALU_DEP_3) | instskip(NEXT) | instid1(VALU_DEP_3)
	v_fma_f32 v94, v77, 2.0, -v83
	v_fma_f32 v102, v73, 2.0, -v96
	s_delay_alu instid0(VALU_DEP_4) | instskip(SKIP_4) | instid1(VALU_DEP_4)
	v_fma_f32 v103, v74, 2.0, -v97
	v_dual_sub_f32 v73, v165, v91 :: v_dual_add_f32 v74, v166, v90
	v_fma_f32 v86, v75, 2.0, -v79
	v_fma_f32 v87, v76, 2.0, -v80
	;; [unrolled: 1-line block ×5, first 2 shown]
	ds_store_b64 v192, v[75:76] offset:4480
	ds_store_b64 v192, v[81:82] offset:7680
	;; [unrolled: 1-line block ×3, first 2 shown]
	v_dual_sub_f32 v74, v88, v92 :: v_dual_sub_f32 v73, v89, v93
	v_dual_sub_f32 v81, v99, v160 :: v_dual_sub_f32 v82, v100, v163
	v_sub_f32_e32 v85, v101, v164
	s_delay_alu instid0(VALU_DEP_3) | instskip(NEXT) | instid1(VALU_DEP_4)
	v_fma_f32 v75, v88, 2.0, -v74
	v_fma_f32 v76, v89, 2.0, -v73
	v_dual_sub_f32 v73, v79, v73 :: v_dual_add_f32 v74, v80, v74
	s_delay_alu instid0(VALU_DEP_2) | instskip(NEXT) | instid1(VALU_DEP_2)
	v_dual_sub_f32 v75, v86, v75 :: v_dual_sub_f32 v76, v87, v76
	v_fma_f32 v79, v79, 2.0, -v73
	s_delay_alu instid0(VALU_DEP_3) | instskip(NEXT) | instid1(VALU_DEP_3)
	v_fma_f32 v80, v80, 2.0, -v74
	v_fma_f32 v77, v86, 2.0, -v75
	s_delay_alu instid0(VALU_DEP_4)
	v_fma_f32 v78, v87, 2.0, -v76
	ds_store_b64 v218, v[77:78]
	ds_store_b64 v218, v[79:80] offset:3200
	ds_store_b64 v218, v[75:76] offset:6400
	;; [unrolled: 1-line block ×3, first 2 shown]
	v_sub_f32_e32 v80, v98, v159
	v_fma_f32 v73, v99, 2.0, -v81
	v_fma_f32 v74, v100, 2.0, -v82
	;; [unrolled: 1-line block ×3, first 2 shown]
	s_delay_alu instid0(VALU_DEP_4) | instskip(NEXT) | instid1(VALU_DEP_3)
	v_fma_f32 v72, v98, 2.0, -v80
	v_dual_sub_f32 v73, v95, v73 :: v_dual_sub_f32 v74, v102, v74
	s_delay_alu instid0(VALU_DEP_2) | instskip(NEXT) | instid1(VALU_DEP_2)
	v_dual_sub_f32 v75, v103, v75 :: v_dual_sub_f32 v72, v94, v72
	v_fma_f32 v77, v95, 2.0, -v73
	s_delay_alu instid0(VALU_DEP_3) | instskip(NEXT) | instid1(VALU_DEP_3)
	v_fma_f32 v78, v102, 2.0, -v74
	v_fma_f32 v79, v103, 2.0, -v75
	s_delay_alu instid0(VALU_DEP_4) | instskip(SKIP_3) | instid1(VALU_DEP_2)
	v_fma_f32 v76, v94, 2.0, -v72
	ds_store_2addr_b64 v217, v[76:77], v[78:79] offset0:16 offset1:176
	v_dual_sub_f32 v76, v83, v81 :: v_dual_add_f32 v77, v84, v80
	v_dual_sub_f32 v78, v96, v85 :: v_dual_add_f32 v79, v97, v82
	v_fma_f32 v80, v83, 2.0, -v76
	s_delay_alu instid0(VALU_DEP_3) | instskip(NEXT) | instid1(VALU_DEP_3)
	v_fma_f32 v81, v84, 2.0, -v77
	v_fma_f32 v82, v96, 2.0, -v78
	s_delay_alu instid0(VALU_DEP_4)
	v_fma_f32 v83, v97, 2.0, -v79
	ds_store_2addr_b64 v206, v[80:81], v[82:83] offset0:32 offset1:192
	ds_store_2addr_b64 v219, v[72:73], v[74:75] offset0:48 offset1:208
	;; [unrolled: 1-line block ×3, first 2 shown]
	global_wb scope:SCOPE_SE
	s_wait_dscnt 0x0
	s_barrier_signal -1
	s_barrier_wait -1
	global_inv scope:SCOPE_SE
	s_clause 0x3
	global_load_b64 v[159:160], v192, s[10:11] offset:12720
	global_load_b64 v[169:170], v192, s[10:11] offset:14000
	;; [unrolled: 1-line block ×4, first 2 shown]
	ds_load_2addr_b64 v[72:75], v199 offset0:64 offset1:224
	s_wait_loadcnt_dscnt 0x300
	v_mul_f32_e32 v76, v73, v160
	v_mul_f32_e32 v77, v72, v160
	s_wait_loadcnt 0x2
	v_mul_f32_e32 v79, v74, v170
	s_delay_alu instid0(VALU_DEP_3) | instskip(NEXT) | instid1(VALU_DEP_3)
	v_fma_f32 v76, v72, v159, -v76
	v_dual_mul_f32 v72, v75, v170 :: v_dual_fmac_f32 v77, v73, v159
	s_delay_alu instid0(VALU_DEP_3) | instskip(NEXT) | instid1(VALU_DEP_2)
	v_fmac_f32_e32 v79, v75, v169
	v_fma_f32 v78, v74, v169, -v72
	ds_load_2addr_b64 v[72:75], v196 offset1:160
	s_clause 0x3
	global_load_b64 v[175:176], v192, s[10:11] offset:17840
	global_load_b64 v[171:172], v192, s[10:11] offset:19120
	;; [unrolled: 1-line block ×4, first 2 shown]
	s_wait_loadcnt_dscnt 0x500
	v_mul_f32_e32 v80, v73, v164
	v_mul_f32_e32 v85, v72, v164
	s_wait_loadcnt 0x4
	v_mul_f32_e32 v87, v74, v166
	s_delay_alu instid0(VALU_DEP_3) | instskip(NEXT) | instid1(VALU_DEP_3)
	v_fma_f32 v84, v72, v163, -v80
	v_dual_mul_f32 v72, v75, v166 :: v_dual_fmac_f32 v85, v73, v163
	s_delay_alu instid0(VALU_DEP_3) | instskip(NEXT) | instid1(VALU_DEP_2)
	v_fmac_f32_e32 v87, v75, v165
	v_fma_f32 v86, v74, v165, -v72
	ds_load_2addr_b64 v[72:75], v198 offset0:64 offset1:224
	s_wait_loadcnt_dscnt 0x300
	v_mul_f32_e32 v80, v73, v176
	v_mul_f32_e32 v93, v72, v176
	s_wait_loadcnt 0x2
	v_mul_f32_e32 v95, v74, v172
	s_delay_alu instid0(VALU_DEP_3) | instskip(NEXT) | instid1(VALU_DEP_3)
	v_fma_f32 v92, v72, v175, -v80
	v_dual_mul_f32 v72, v75, v172 :: v_dual_fmac_f32 v93, v73, v175
	s_delay_alu instid0(VALU_DEP_3) | instskip(NEXT) | instid1(VALU_DEP_2)
	v_fmac_f32_e32 v95, v75, v171
	v_fma_f32 v94, v74, v171, -v72
	ds_load_2addr_b64 v[72:75], v195 offset1:160
	s_clause 0x1
	global_load_b64 v[177:178], v192, s[10:11] offset:22960
	global_load_b64 v[179:180], v192, s[10:11] offset:24240
	s_wait_loadcnt_dscnt 0x300
	v_mul_f32_e32 v80, v73, v174
	v_mul_f32_e32 v101, v72, v174
	s_wait_loadcnt 0x2
	v_mul_f32_e32 v103, v74, v168
	s_delay_alu instid0(VALU_DEP_3) | instskip(NEXT) | instid1(VALU_DEP_3)
	v_fma_f32 v100, v72, v173, -v80
	v_dual_mul_f32 v72, v75, v168 :: v_dual_fmac_f32 v101, v73, v173
	s_delay_alu instid0(VALU_DEP_3) | instskip(NEXT) | instid1(VALU_DEP_2)
	v_fmac_f32_e32 v103, v75, v167
	v_fma_f32 v102, v74, v167, -v72
	ds_load_2addr_b64 v[72:75], v197 offset0:64 offset1:224
	s_wait_loadcnt_dscnt 0x100
	v_mul_f32_e32 v80, v73, v178
	s_wait_loadcnt 0x0
	v_dual_mul_f32 v221, v72, v178 :: v_dual_mul_f32 v230, v74, v180
	s_delay_alu instid0(VALU_DEP_2) | instskip(NEXT) | instid1(VALU_DEP_2)
	v_fma_f32 v220, v72, v177, -v80
	v_dual_mul_f32 v72, v75, v180 :: v_dual_fmac_f32 v221, v73, v177
	s_delay_alu instid0(VALU_DEP_3) | instskip(NEXT) | instid1(VALU_DEP_2)
	v_fmac_f32_e32 v230, v75, v179
	v_fma_f32 v222, v74, v179, -v72
	ds_load_2addr_b64 v[72:75], v192 offset1:160
	s_wait_dscnt 0x0
	v_dual_sub_f32 v76, v72, v76 :: v_dual_sub_f32 v77, v73, v77
	v_dual_sub_f32 v78, v74, v78 :: v_dual_sub_f32 v79, v75, v79
	s_delay_alu instid0(VALU_DEP_2) | instskip(NEXT) | instid1(VALU_DEP_3)
	v_fma_f32 v80, v72, 2.0, -v76
	v_fma_f32 v81, v73, 2.0, -v77
	s_delay_alu instid0(VALU_DEP_3) | instskip(NEXT) | instid1(VALU_DEP_4)
	v_fma_f32 v82, v74, 2.0, -v78
	v_fma_f32 v83, v75, 2.0, -v79
	ds_load_2addr_b64 v[72:75], v201 offset0:64 offset1:224
	s_wait_dscnt 0x0
	v_dual_sub_f32 v84, v72, v84 :: v_dual_sub_f32 v85, v73, v85
	v_dual_sub_f32 v86, v74, v86 :: v_dual_sub_f32 v87, v75, v87
	s_delay_alu instid0(VALU_DEP_2) | instskip(NEXT) | instid1(VALU_DEP_3)
	v_fma_f32 v88, v72, 2.0, -v84
	v_fma_f32 v89, v73, 2.0, -v85
	s_delay_alu instid0(VALU_DEP_3) | instskip(NEXT) | instid1(VALU_DEP_4)
	v_fma_f32 v90, v74, 2.0, -v86
	v_fma_f32 v91, v75, 2.0, -v87
	ds_load_2addr_b64 v[72:75], v194 offset1:160
	s_wait_dscnt 0x0
	v_dual_sub_f32 v92, v72, v92 :: v_dual_sub_f32 v93, v73, v93
	v_dual_sub_f32 v94, v74, v94 :: v_dual_sub_f32 v95, v75, v95
	s_delay_alu instid0(VALU_DEP_2) | instskip(NEXT) | instid1(VALU_DEP_3)
	v_fma_f32 v96, v72, 2.0, -v92
	v_fma_f32 v97, v73, 2.0, -v93
	s_delay_alu instid0(VALU_DEP_3) | instskip(NEXT) | instid1(VALU_DEP_4)
	v_fma_f32 v98, v74, 2.0, -v94
	v_fma_f32 v99, v75, 2.0, -v95
	ds_load_2addr_b64 v[72:75], v200 offset0:64 offset1:224
	s_wait_dscnt 0x0
	v_dual_sub_f32 v100, v72, v100 :: v_dual_sub_f32 v101, v73, v101
	v_dual_sub_f32 v102, v74, v102 :: v_dual_sub_f32 v103, v75, v103
	s_delay_alu instid0(VALU_DEP_2) | instskip(NEXT) | instid1(VALU_DEP_3)
	v_fma_f32 v223, v72, 2.0, -v100
	v_fma_f32 v224, v73, 2.0, -v101
	s_delay_alu instid0(VALU_DEP_3) | instskip(NEXT) | instid1(VALU_DEP_4)
	v_fma_f32 v225, v74, 2.0, -v102
	v_fma_f32 v226, v75, 2.0, -v103
	ds_load_2addr_b64 v[72:75], v193 offset1:160
	s_wait_dscnt 0x0
	v_dual_sub_f32 v227, v72, v220 :: v_dual_sub_f32 v228, v73, v221
	v_sub_f32_e32 v229, v74, v222
	v_sub_f32_e32 v230, v75, v230
	v_add_nc_u32_e32 v222, 0x3600, v192
	v_add_nc_u32_e32 v221, 0x4a00, v192
	;; [unrolled: 1-line block ×3, first 2 shown]
	v_fma_f32 v72, v72, 2.0, -v227
	v_fma_f32 v73, v73, 2.0, -v228
	;; [unrolled: 1-line block ×4, first 2 shown]
	ds_store_b64 v192, v[76:77] offset:12800
	ds_store_2addr_b64 v192, v[80:81], v[82:83] offset1:160
	ds_store_2addr_b64 v222, v[78:79], v[84:85] offset0:32 offset1:192
	ds_store_2addr_b64 v201, v[88:89], v[90:91] offset0:64 offset1:224
	;; [unrolled: 1-line block ×3, first 2 shown]
	ds_store_2addr_b64 v194, v[96:97], v[98:99] offset1:160
	ds_store_2addr_b64 v221, v[94:95], v[100:101] offset0:32 offset1:192
	ds_store_2addr_b64 v200, v[223:224], v[225:226] offset0:64 offset1:224
	;; [unrolled: 1-line block ×3, first 2 shown]
	ds_store_2addr_b64 v193, v[72:73], v[74:75] offset1:160
	ds_store_b64 v192, v[229:230] offset:24320
	global_wb scope:SCOPE_SE
	s_wait_dscnt 0x0
	s_barrier_signal -1
	s_barrier_wait -1
	global_inv scope:SCOPE_SE
	s_clause 0x1
	global_load_b64 v[76:77], v192, s[8:9] offset:25600
	global_load_b64 v[78:79], v192, s[2:3] offset:24320
	ds_load_2addr_b64 v[72:75], v192 offset1:160
	s_wait_loadcnt_dscnt 0x100
	v_mul_f32_e32 v80, v73, v77
	v_mul_f32_e32 v81, v72, v77
	s_delay_alu instid0(VALU_DEP_2) | instskip(NEXT) | instid1(VALU_DEP_2)
	v_fma_f32 v80, v72, v76, -v80
	v_fmac_f32_e32 v81, v73, v76
	s_clause 0x3
	global_load_b64 v[72:73], v192, s[2:3] offset:1280
	global_load_b64 v[76:77], v192, s[2:3] offset:2560
	;; [unrolled: 1-line block ×4, first 2 shown]
	ds_store_b64 v192, v[80:81]
	s_wait_loadcnt 0x3
	v_mul_f32_e32 v86, v75, v73
	v_mul_f32_e32 v87, v74, v73
	s_delay_alu instid0(VALU_DEP_2) | instskip(NEXT) | instid1(VALU_DEP_2)
	v_fma_f32 v86, v74, v72, -v86
	v_fmac_f32_e32 v87, v75, v72
	ds_load_2addr_b64 v[72:75], v201 offset0:64 offset1:224
	s_wait_loadcnt_dscnt 0x200
	v_mul_f32_e32 v80, v73, v77
	v_mul_f32_e32 v81, v72, v77
	s_wait_loadcnt 0x1
	v_mul_f32_e32 v77, v74, v83
	s_delay_alu instid0(VALU_DEP_3) | instskip(NEXT) | instid1(VALU_DEP_3)
	v_fma_f32 v80, v72, v76, -v80
	v_dual_mul_f32 v72, v75, v83 :: v_dual_fmac_f32 v81, v73, v76
	s_delay_alu instid0(VALU_DEP_3) | instskip(NEXT) | instid1(VALU_DEP_2)
	v_fmac_f32_e32 v77, v75, v82
	v_fma_f32 v76, v74, v82, -v72
	ds_load_2addr_b64 v[72:75], v194 offset1:160
	s_wait_loadcnt_dscnt 0x0
	v_mul_f32_e32 v82, v73, v85
	v_mul_f32_e32 v83, v72, v85
	s_delay_alu instid0(VALU_DEP_2) | instskip(NEXT) | instid1(VALU_DEP_2)
	v_fma_f32 v82, v72, v84, -v82
	v_fmac_f32_e32 v83, v73, v84
	s_clause 0x3
	global_load_b64 v[72:73], v192, s[2:3] offset:6400
	global_load_b64 v[84:85], v192, s[2:3] offset:7680
	global_load_b64 v[88:89], v192, s[2:3] offset:8960
	global_load_b64 v[90:91], v192, s[2:3] offset:10240
	s_wait_loadcnt 0x3
	v_mul_f32_e32 v92, v75, v73
	v_mul_f32_e32 v93, v74, v73
	s_delay_alu instid0(VALU_DEP_2) | instskip(NEXT) | instid1(VALU_DEP_2)
	v_fma_f32 v92, v74, v72, -v92
	v_fmac_f32_e32 v93, v75, v72
	ds_load_2addr_b64 v[72:75], v200 offset0:64 offset1:224
	s_wait_loadcnt_dscnt 0x200
	v_mul_f32_e32 v94, v73, v85
	v_mul_f32_e32 v95, v72, v85
	s_wait_loadcnt 0x1
	v_mul_f32_e32 v85, v74, v89
	s_delay_alu instid0(VALU_DEP_3) | instskip(NEXT) | instid1(VALU_DEP_3)
	v_fma_f32 v94, v72, v84, -v94
	v_dual_mul_f32 v72, v75, v89 :: v_dual_fmac_f32 v95, v73, v84
	s_delay_alu instid0(VALU_DEP_3) | instskip(NEXT) | instid1(VALU_DEP_2)
	v_fmac_f32_e32 v85, v75, v88
	v_fma_f32 v84, v74, v88, -v72
	ds_load_2addr_b64 v[72:75], v193 offset1:160
	s_wait_loadcnt_dscnt 0x0
	v_mul_f32_e32 v88, v73, v91
	v_mul_f32_e32 v89, v72, v91
	s_delay_alu instid0(VALU_DEP_2) | instskip(NEXT) | instid1(VALU_DEP_2)
	v_fma_f32 v88, v72, v90, -v88
	v_fmac_f32_e32 v89, v73, v90
	s_clause 0x3
	global_load_b64 v[72:73], v192, s[2:3] offset:11520
	global_load_b64 v[90:91], v192, s[2:3] offset:12800
	global_load_b64 v[96:97], v192, s[2:3] offset:14080
	global_load_b64 v[98:99], v192, s[2:3] offset:15360
	s_wait_loadcnt 0x3
	v_mul_f32_e32 v100, v75, v73
	v_mul_f32_e32 v101, v74, v73
	s_delay_alu instid0(VALU_DEP_2) | instskip(NEXT) | instid1(VALU_DEP_2)
	v_fma_f32 v100, v74, v72, -v100
	v_fmac_f32_e32 v101, v75, v72
	ds_load_2addr_b64 v[72:75], v199 offset0:64 offset1:224
	s_wait_loadcnt_dscnt 0x200
	v_mul_f32_e32 v102, v73, v91
	v_mul_f32_e32 v103, v72, v91
	s_wait_loadcnt 0x1
	v_mul_f32_e32 v91, v74, v97
	s_delay_alu instid0(VALU_DEP_3) | instskip(NEXT) | instid1(VALU_DEP_3)
	v_fma_f32 v102, v72, v90, -v102
	v_dual_mul_f32 v72, v75, v97 :: v_dual_fmac_f32 v103, v73, v90
	s_delay_alu instid0(VALU_DEP_3) | instskip(NEXT) | instid1(VALU_DEP_2)
	v_fmac_f32_e32 v91, v75, v96
	v_fma_f32 v90, v74, v96, -v72
	ds_load_2addr_b64 v[72:75], v196 offset1:160
	s_wait_loadcnt_dscnt 0x0
	v_mul_f32_e32 v96, v73, v99
	v_mul_f32_e32 v97, v72, v99
	s_delay_alu instid0(VALU_DEP_2) | instskip(NEXT) | instid1(VALU_DEP_2)
	v_fma_f32 v96, v72, v98, -v96
	v_fmac_f32_e32 v97, v73, v98
	s_clause 0x3
	global_load_b64 v[72:73], v192, s[2:3] offset:16640
	global_load_b64 v[98:99], v192, s[2:3] offset:17920
	global_load_b64 v[223:224], v192, s[2:3] offset:19200
	global_load_b64 v[225:226], v192, s[2:3] offset:20480
	s_wait_loadcnt 0x3
	v_mul_f32_e32 v228, v74, v73
	v_mul_f32_e32 v227, v75, v73
	s_delay_alu instid0(VALU_DEP_2) | instskip(NEXT) | instid1(VALU_DEP_2)
	v_fmac_f32_e32 v228, v75, v72
	v_fma_f32 v227, v74, v72, -v227
	ds_load_2addr_b64 v[72:75], v198 offset0:64 offset1:224
	s_wait_loadcnt_dscnt 0x200
	v_mul_f32_e32 v230, v72, v99
	v_mul_f32_e32 v229, v73, v99
	s_wait_loadcnt 0x1
	s_delay_alu instid0(VALU_DEP_2) | instskip(NEXT) | instid1(VALU_DEP_2)
	v_dual_mul_f32 v99, v74, v224 :: v_dual_fmac_f32 v230, v73, v98
	v_fma_f32 v229, v72, v98, -v229
	v_mul_f32_e32 v72, v75, v224
	s_delay_alu instid0(VALU_DEP_3) | instskip(NEXT) | instid1(VALU_DEP_2)
	v_fmac_f32_e32 v99, v75, v223
	v_fma_f32 v98, v74, v223, -v72
	ds_load_2addr_b64 v[72:75], v195 offset1:160
	s_wait_loadcnt_dscnt 0x0
	v_mul_f32_e32 v224, v72, v226
	v_mul_f32_e32 v223, v73, v226
	s_delay_alu instid0(VALU_DEP_2) | instskip(NEXT) | instid1(VALU_DEP_2)
	v_fmac_f32_e32 v224, v73, v225
	v_fma_f32 v223, v72, v225, -v223
	s_clause 0x1
	global_load_b64 v[72:73], v192, s[2:3] offset:21760
	global_load_b64 v[225:226], v192, s[2:3] offset:23040
	s_mov_b32 s2, 0x47ae147b
	s_mov_b32 s3, 0x3f347ae1
	s_wait_loadcnt 0x1
	v_mul_f32_e32 v231, v75, v73
	v_mul_f32_e32 v232, v74, v73
	s_delay_alu instid0(VALU_DEP_2) | instskip(NEXT) | instid1(VALU_DEP_2)
	v_fma_f32 v231, v74, v72, -v231
	v_fmac_f32_e32 v232, v75, v72
	ds_load_2addr_b64 v[72:75], v197 offset0:64 offset1:224
	s_wait_loadcnt_dscnt 0x0
	v_mul_f32_e32 v233, v73, v226
	v_mul_f32_e32 v234, v72, v226
	s_delay_alu instid0(VALU_DEP_2) | instskip(SKIP_1) | instid1(VALU_DEP_3)
	v_fma_f32 v233, v72, v225, -v233
	v_mul_f32_e32 v72, v75, v79
	v_dual_fmac_f32 v234, v73, v225 :: v_dual_mul_f32 v73, v74, v79
	s_delay_alu instid0(VALU_DEP_2) | instskip(NEXT) | instid1(VALU_DEP_2)
	v_fma_f32 v72, v74, v78, -v72
	v_dual_fmac_f32 v73, v75, v78 :: v_dual_add_nc_u32 v74, 0x400, v192
	ds_store_2addr_b64 v74, v[86:87], v[80:81] offset0:32 offset1:192
	v_add_nc_u32_e32 v74, 0xe00, v192
	ds_store_2addr_b64 v74, v[76:77], v[82:83] offset0:32 offset1:192
	v_add_nc_u32_e32 v74, 0x1800, v192
	;; [unrolled: 2-line block ×4, first 2 shown]
	ds_store_2addr_b64 v74, v[100:101], v[102:103] offset0:32 offset1:192
	ds_store_2addr_b64 v222, v[90:91], v[96:97] offset0:32 offset1:192
	;; [unrolled: 1-line block ×5, first 2 shown]
	ds_store_b64 v192, v[72:73] offset:24320
	global_wb scope:SCOPE_SE
	s_wait_dscnt 0x0
	s_barrier_signal -1
	s_barrier_wait -1
	global_inv scope:SCOPE_SE
	ds_load_2addr_b64 v[72:75], v194 offset1:160
	ds_load_2addr_b64 v[76:79], v193 offset1:160
	;; [unrolled: 1-line block ×4, first 2 shown]
	s_wait_dscnt 0x2
	v_sub_f32_e32 v88, v72, v76
	s_wait_dscnt 0x0
	v_sub_f32_e32 v89, v80, v84
	v_sub_f32_e32 v248, v76, v84
	;; [unrolled: 1-line block ×4, first 2 shown]
	v_add_f32_e32 v233, v72, v80
	v_add_f32_e32 v223, v88, v89
	v_sub_f32_e32 v88, v73, v77
	v_sub_f32_e32 v89, v81, v85
	;; [unrolled: 1-line block ×4, first 2 shown]
	s_delay_alu instid0(VALU_DEP_3)
	v_add_f32_e32 v224, v88, v89
	ds_load_2addr_b64 v[88:91], v200 offset0:64 offset1:224
	ds_load_2addr_b64 v[92:95], v199 offset0:64 offset1:224
	;; [unrolled: 1-line block ×4, first 2 shown]
	s_wait_dscnt 0x2
	v_sub_f32_e32 v225, v88, v92
	s_wait_dscnt 0x0
	v_dual_sub_f32 v226, v96, v100 :: v_dual_sub_f32 v227, v97, v101
	v_sub_f32_e32 v252, v89, v97
	v_dual_sub_f32 v251, v93, v101 :: v_dual_sub_f32 v254, v88, v96
	s_delay_alu instid0(VALU_DEP_3) | instskip(SKIP_1) | instid1(VALU_DEP_1)
	v_add_f32_e32 v225, v225, v226
	v_dual_sub_f32 v226, v89, v93 :: v_dual_add_f32 v237, v88, v96
	v_dual_sub_f32 v253, v92, v100 :: v_dual_add_f32 v226, v226, v227
	v_sub_f32_e32 v227, v76, v72
	s_delay_alu instid0(VALU_DEP_1) | instskip(SKIP_2) | instid1(VALU_DEP_1)
	v_add_f32_e32 v231, v227, v228
	v_sub_f32_e32 v227, v77, v73
	v_sub_f32_e32 v228, v85, v81
	v_add_f32_e32 v232, v227, v228
	v_sub_f32_e32 v227, v92, v88
	v_sub_f32_e32 v228, v100, v96
	s_delay_alu instid0(VALU_DEP_1) | instskip(SKIP_1) | instid1(VALU_DEP_1)
	v_dual_add_f32 v235, v227, v228 :: v_dual_sub_f32 v228, v101, v97
	v_sub_f32_e32 v227, v93, v89
	v_add_f32_e32 v236, v227, v228
	ds_load_2addr_b64 v[227:230], v192 offset1:160
	s_wait_dscnt 0x0
	v_fma_f32 v243, -0.5, v233, v227
	s_delay_alu instid0(VALU_DEP_1) | instskip(SKIP_1) | instid1(VALU_DEP_2)
	v_dual_add_f32 v72, v227, v72 :: v_dual_fmamk_f32 v245, v244, 0x3f737871, v243
	v_fmac_f32_e32 v243, 0xbf737871, v244
	v_dual_add_f32 v72, v72, v76 :: v_dual_fmac_f32 v245, 0xbf167918, v246
	s_delay_alu instid0(VALU_DEP_1) | instskip(NEXT) | instid1(VALU_DEP_2)
	v_dual_fmac_f32 v243, 0x3f167918, v246 :: v_dual_add_f32 v72, v72, v84
	v_fmac_f32_e32 v245, 0x3e9e377a, v231
	s_delay_alu instid0(VALU_DEP_2) | instskip(NEXT) | instid1(VALU_DEP_3)
	v_fmac_f32_e32 v243, 0x3e9e377a, v231
	v_dual_add_f32 v231, v73, v81 :: v_dual_add_f32 v72, v72, v80
	s_delay_alu instid0(VALU_DEP_1) | instskip(NEXT) | instid1(VALU_DEP_1)
	v_fma_f32 v247, -0.5, v231, v228
	v_fmamk_f32 v249, v248, 0xbf737871, v247
	s_delay_alu instid0(VALU_DEP_1) | instskip(SKIP_1) | instid1(VALU_DEP_2)
	v_fmac_f32_e32 v249, 0x3f167918, v250
	v_fmac_f32_e32 v247, 0x3f737871, v248
	;; [unrolled: 1-line block ×3, first 2 shown]
	s_delay_alu instid0(VALU_DEP_2) | instskip(NEXT) | instid1(VALU_DEP_1)
	v_fmac_f32_e32 v247, 0xbf167918, v250
	v_fmac_f32_e32 v247, 0x3e9e377a, v232
	ds_load_2addr_b64 v[231:234], v201 offset0:64 offset1:224
	v_add_f32_e32 v73, v228, v73
	global_wb scope:SCOPE_SE
	s_wait_dscnt 0x0
	s_barrier_signal -1
	s_barrier_wait -1
	global_inv scope:SCOPE_SE
	v_add_f32_e32 v88, v231, v88
	v_fma_f32 v237, -0.5, v237, v231
	s_delay_alu instid0(VALU_DEP_2) | instskip(NEXT) | instid1(VALU_DEP_2)
	v_dual_add_f32 v73, v73, v77 :: v_dual_add_f32 v88, v88, v92
	v_fmamk_f32 v238, v251, 0x3f737871, v237
	v_fmac_f32_e32 v237, 0xbf737871, v251
	v_add_f32_e32 v77, v77, v85
	s_delay_alu instid0(VALU_DEP_3) | instskip(NEXT) | instid1(VALU_DEP_3)
	v_dual_add_f32 v73, v73, v85 :: v_dual_fmac_f32 v238, 0xbf167918, v252
	v_fmac_f32_e32 v237, 0x3f167918, v252
	s_delay_alu instid0(VALU_DEP_2) | instskip(NEXT) | instid1(VALU_DEP_2)
	v_dual_add_f32 v73, v73, v81 :: v_dual_fmac_f32 v238, 0x3e9e377a, v235
	v_fmac_f32_e32 v237, 0x3e9e377a, v235
	v_add_f32_e32 v235, v89, v97
	v_add_f32_e32 v89, v232, v89
	s_delay_alu instid0(VALU_DEP_2) | instskip(NEXT) | instid1(VALU_DEP_2)
	v_fma_f32 v235, -0.5, v235, v232
	v_add_f32_e32 v89, v89, v93
	s_delay_alu instid0(VALU_DEP_2) | instskip(NEXT) | instid1(VALU_DEP_2)
	v_fmamk_f32 v239, v253, 0xbf737871, v235
	v_add_f32_e32 v85, v89, v101
	v_add_f32_e32 v89, v74, v82
	s_delay_alu instid0(VALU_DEP_3) | instskip(NEXT) | instid1(VALU_DEP_1)
	v_fmac_f32_e32 v239, 0x3f167918, v254
	v_fmac_f32_e32 v239, 0x3e9e377a, v236
	s_delay_alu instid0(VALU_DEP_1) | instskip(NEXT) | instid1(VALU_DEP_1)
	v_mul_f32_e32 v210, 0x3e9e377a, v239
	v_dual_fmac_f32 v235, 0x3f737871, v253 :: v_dual_fmac_f32 v210, 0x3f737871, v238
	s_delay_alu instid0(VALU_DEP_1) | instskip(NEXT) | instid1(VALU_DEP_1)
	v_fmac_f32_e32 v235, 0xbf167918, v254
	v_dual_fmac_f32 v235, 0x3e9e377a, v236 :: v_dual_add_f32 v236, v93, v101
	v_sub_f32_e32 v93, v83, v87
	v_sub_f32_e32 v101, v94, v90
	s_delay_alu instid0(VALU_DEP_3) | instskip(SKIP_2) | instid1(VALU_DEP_2)
	v_fma_f32 v255, -0.5, v236, v232
	v_add_f32_e32 v236, v92, v100
	v_sub_f32_e32 v92, v74, v82
	v_fma_f32 v104, -0.5, v236, v231
	s_delay_alu instid0(VALU_DEP_4) | instskip(NEXT) | instid1(VALU_DEP_2)
	v_fmamk_f32 v236, v254, 0x3f737871, v255
	v_dual_fmac_f32 v255, 0xbf737871, v254 :: v_dual_fmamk_f32 v240, v252, 0xbf737871, v104
	v_fmac_f32_e32 v104, 0x3f737871, v252
	s_delay_alu instid0(VALU_DEP_2) | instskip(NEXT) | instid1(VALU_DEP_4)
	v_fmac_f32_e32 v240, 0xbf167918, v251
	v_fmac_f32_e32 v236, 0x3f167918, v253
	s_delay_alu instid0(VALU_DEP_2) | instskip(SKIP_1) | instid1(VALU_DEP_3)
	v_fmac_f32_e32 v240, 0x3e9e377a, v225
	v_mul_f32_e32 v209, 0xbf737871, v239
	v_fmac_f32_e32 v236, 0x3e9e377a, v226
	s_delay_alu instid0(VALU_DEP_3) | instskip(NEXT) | instid1(VALU_DEP_3)
	v_mul_f32_e32 v208, 0x3f167918, v240
	v_dual_fmac_f32 v209, 0x3e9e377a, v238 :: v_dual_add_f32 v76, v76, v84
	v_add_f32_e32 v84, v88, v100
	v_fma_f32 v77, -0.5, v77, v228
	s_delay_alu instid0(VALU_DEP_3) | instskip(NEXT) | instid1(VALU_DEP_4)
	v_dual_fmac_f32 v208, 0x3f4f1bbd, v236 :: v_dual_add_f32 v239, v245, v209
	v_fma_f32 v76, -0.5, v76, v227
	s_delay_alu instid0(VALU_DEP_3) | instskip(SKIP_1) | instid1(VALU_DEP_3)
	v_dual_add_f32 v81, v84, v96 :: v_dual_fmamk_f32 v88, v250, 0x3f737871, v77
	v_dual_add_f32 v84, v85, v97 :: v_dual_mul_f32 v211, 0xbf737871, v235
	v_fmamk_f32 v80, v246, 0xbf737871, v76
	v_mul_f32_e32 v189, 0xbf167918, v236
	v_mul_f32_e32 v212, 0xbe9e377a, v235
	s_delay_alu instid0(VALU_DEP_4) | instskip(NEXT) | instid1(VALU_DEP_4)
	v_dual_sub_f32 v228, v73, v84 :: v_dual_fmac_f32 v211, 0xbe9e377a, v237
	v_fmac_f32_e32 v80, 0xbf167918, v244
	s_delay_alu instid0(VALU_DEP_4) | instskip(NEXT) | instid1(VALU_DEP_4)
	v_fmac_f32_e32 v189, 0x3f4f1bbd, v240
	v_fmac_f32_e32 v212, 0x3f737871, v237
	s_delay_alu instid0(VALU_DEP_4) | instskip(NEXT) | instid1(VALU_DEP_4)
	v_dual_add_f32 v240, v249, v210 :: v_dual_add_f32 v241, v243, v211
	v_fmac_f32_e32 v80, 0x3e9e377a, v223
	v_dual_fmac_f32 v88, 0x3f167918, v248 :: v_dual_add_f32 v235, v72, v81
	v_dual_add_f32 v236, v73, v84 :: v_dual_sub_f32 v227, v72, v81
	s_delay_alu instid0(VALU_DEP_2) | instskip(SKIP_3) | instid1(VALU_DEP_4)
	v_dual_add_f32 v237, v80, v189 :: v_dual_fmac_f32 v88, 0x3e9e377a, v224
	v_add_f32_e32 v242, v247, v212
	v_fmac_f32_e32 v76, 0x3f737871, v246
	v_fmac_f32_e32 v77, 0xbf737871, v250
	v_dual_fmac_f32 v255, 0xbf167918, v253 :: v_dual_add_f32 v238, v88, v208
	ds_store_b128 v205, v[235:238]
	ds_store_b128 v205, v[239:242] offset:16
	v_dual_sub_f32 v237, v245, v209 :: v_dual_sub_f32 v236, v88, v208
	v_fmac_f32_e32 v76, 0x3f167918, v244
	v_dual_fmac_f32 v77, 0xbf167918, v248 :: v_dual_sub_f32 v238, v249, v210
	v_dual_sub_f32 v235, v80, v189 :: v_dual_sub_f32 v80, v79, v87
	s_delay_alu instid0(VALU_DEP_3) | instskip(SKIP_1) | instid1(VALU_DEP_4)
	v_dual_sub_f32 v81, v78, v74 :: v_dual_fmac_f32 v76, 0x3e9e377a, v223
	v_fmac_f32_e32 v104, 0x3f167918, v251
	v_fmac_f32_e32 v77, 0x3e9e377a, v224
	v_dual_sub_f32 v224, v247, v212 :: v_dual_fmac_f32 v255, 0x3e9e377a, v226
	v_dual_add_f32 v84, v79, v87 :: v_dual_sub_f32 v85, v78, v86
	s_delay_alu instid0(VALU_DEP_4) | instskip(NEXT) | instid1(VALU_DEP_3)
	v_dual_fmac_f32 v104, 0x3e9e377a, v225 :: v_dual_sub_f32 v223, v243, v211
	v_mul_f32_e32 v72, 0xbf167918, v255
	v_mul_f32_e32 v73, 0xbf4f1bbd, v255
	v_sub_f32_e32 v88, v75, v83
	v_dual_add_f32 v96, v94, v102 :: v_dual_sub_f32 v189, v91, v95
	s_delay_alu instid0(VALU_DEP_4) | instskip(NEXT) | instid1(VALU_DEP_4)
	v_fmac_f32_e32 v72, 0xbf4f1bbd, v104
	v_fmac_f32_e32 v73, 0x3f167918, v104
	v_dual_sub_f32 v97, v95, v103 :: v_dual_sub_f32 v100, v90, v94
	v_dual_add_f32 v104, v95, v103 :: v_dual_sub_f32 v209, v98, v102
	s_delay_alu instid0(VALU_DEP_3)
	v_dual_add_f32 v225, v76, v72 :: v_dual_add_f32 v226, v77, v73
	ds_store_b128 v205, v[225:228] offset:32
	ds_store_b128 v205, v[235:238] offset:48
	v_dual_sub_f32 v225, v76, v72 :: v_dual_add_f32 v72, v229, v74
	v_dual_sub_f32 v226, v77, v73 :: v_dual_sub_f32 v77, v74, v78
	v_add_f32_e32 v73, v230, v75
	v_add_f32_e32 v74, v75, v83
	s_delay_alu instid0(VALU_DEP_4)
	v_add_f32_e32 v72, v72, v78
	ds_store_b128 v205, v[223:226] offset:64
	v_sub_f32_e32 v205, v91, v99
	v_dual_add_f32 v73, v73, v79 :: v_dual_add_f32 v76, v78, v86
	v_sub_f32_e32 v78, v75, v79
	v_dual_sub_f32 v79, v79, v75 :: v_dual_add_f32 v72, v72, v86
	s_delay_alu instid0(VALU_DEP_3) | instskip(SKIP_3) | instid1(VALU_DEP_4)
	v_add_f32_e32 v73, v73, v87
	v_sub_f32_e32 v87, v87, v83
	v_sub_f32_e32 v75, v82, v86
	;; [unrolled: 1-line block ×3, first 2 shown]
	v_dual_add_f32 v82, v72, v82 :: v_dual_add_f32 v83, v73, v83
	v_dual_add_f32 v73, v234, v91 :: v_dual_add_f32 v72, v233, v90
	v_add_f32_e32 v208, v90, v98
	v_fma_f32 v104, -0.5, v104, v234
	v_add_f32_e32 v93, v78, v93
	s_delay_alu instid0(VALU_DEP_4) | instskip(SKIP_2) | instid1(VALU_DEP_3)
	v_dual_add_f32 v73, v73, v95 :: v_dual_add_f32 v72, v72, v94
	v_dual_sub_f32 v94, v94, v102 :: v_dual_sub_f32 v95, v95, v91
	v_dual_add_f32 v91, v91, v99 :: v_dual_sub_f32 v90, v90, v98
	v_dual_add_f32 v73, v73, v103 :: v_dual_add_f32 v72, v72, v102
	v_sub_f32_e32 v102, v102, v98
	s_delay_alu instid0(VALU_DEP_3) | instskip(SKIP_1) | instid1(VALU_DEP_4)
	v_fmac_f32_e32 v234, -0.5, v91
	v_sub_f32_e32 v210, v99, v103
	v_dual_sub_f32 v103, v103, v99 :: v_dual_add_f32 v98, v72, v98
	v_dual_add_f32 v100, v100, v209 :: v_dual_add_f32 v99, v73, v99
	s_delay_alu instid0(VALU_DEP_2)
	v_dual_fmamk_f32 v73, v94, 0xbf737871, v234 :: v_dual_add_f32 v72, v95, v103
	v_fma_f32 v95, -0.5, v208, v233
	v_add_f32_e32 v208, v77, v75
	v_add_f32_e32 v75, v81, v86
	v_fma_f32 v81, -0.5, v84, v230
	v_fma_f32 v84, -0.5, v89, v229
	v_add_f32_e32 v189, v189, v210
	v_fmac_f32_e32 v234, 0x3f737871, v94
	v_fmac_f32_e32 v73, 0x3f167918, v90
	v_fma_f32 v91, -0.5, v96, v233
	v_fmamk_f32 v86, v80, 0x3f737871, v84
	v_dual_fmac_f32 v84, 0xbf737871, v80 :: v_dual_add_f32 v77, v101, v102
	v_fma_f32 v209, -0.5, v76, v229
	v_fmamk_f32 v211, v92, 0x3f737871, v81
	s_delay_alu instid0(VALU_DEP_4) | instskip(NEXT) | instid1(VALU_DEP_4)
	v_fmac_f32_e32 v86, 0xbf167918, v88
	v_fmac_f32_e32 v84, 0x3f167918, v88
	;; [unrolled: 1-line block ×3, first 2 shown]
	v_fmamk_f32 v210, v88, 0xbf737871, v209
	v_fmac_f32_e32 v209, 0x3f737871, v88
	v_fmac_f32_e32 v86, 0x3e9e377a, v75
	;; [unrolled: 1-line block ×3, first 2 shown]
	v_fmamk_f32 v75, v97, 0x3f737871, v95
	v_fmac_f32_e32 v234, 0xbf167918, v90
	v_fmac_f32_e32 v95, 0xbf737871, v97
	;; [unrolled: 1-line block ×3, first 2 shown]
	v_dual_fmac_f32 v210, 0xbf167918, v80 :: v_dual_fmac_f32 v81, 0xbf167918, v85
	v_fmac_f32_e32 v75, 0xbf167918, v205
	v_fmac_f32_e32 v234, 0x3e9e377a, v72
	v_dual_fmac_f32 v230, -0.5, v74 :: v_dual_fmac_f32 v95, 0x3f167918, v205
	s_delay_alu instid0(VALU_DEP_3) | instskip(NEXT) | instid1(VALU_DEP_3)
	v_dual_add_f32 v74, v79, v87 :: v_dual_fmac_f32 v75, 0x3e9e377a, v77
	v_mul_f32_e32 v96, 0xbf737871, v234
	v_mul_f32_e32 v103, 0xbe9e377a, v234
	v_fmac_f32_e32 v73, 0x3e9e377a, v72
	v_fmamk_f32 v87, v85, 0xbf737871, v230
	v_fmac_f32_e32 v95, 0x3e9e377a, v77
	v_fmac_f32_e32 v230, 0x3f737871, v85
	s_delay_alu instid0(VALU_DEP_4) | instskip(SKIP_1) | instid1(VALU_DEP_4)
	v_dual_fmac_f32 v209, 0x3e9e377a, v208 :: v_dual_mul_f32 v102, 0x3e9e377a, v73
	v_fmac_f32_e32 v81, 0x3e9e377a, v93
	v_fmac_f32_e32 v103, 0x3f737871, v95
	s_delay_alu instid0(VALU_DEP_3) | instskip(SKIP_3) | instid1(VALU_DEP_3)
	v_fmac_f32_e32 v102, 0x3f737871, v75
	v_fmamk_f32 v72, v90, 0x3f737871, v104
	v_fmac_f32_e32 v87, 0x3f167918, v92
	v_fmac_f32_e32 v104, 0xbf737871, v90
	;; [unrolled: 1-line block ×3, first 2 shown]
	s_delay_alu instid0(VALU_DEP_3) | instskip(SKIP_4) | instid1(VALU_DEP_4)
	v_fmac_f32_e32 v87, 0x3e9e377a, v74
	v_fmac_f32_e32 v96, 0xbe9e377a, v95
	;; [unrolled: 1-line block ×3, first 2 shown]
	v_mul_f32_e32 v95, 0xbf737871, v73
	v_dual_fmac_f32 v72, 0x3e9e377a, v189 :: v_dual_add_f32 v73, v83, v99
	v_add_f32_e32 v78, v84, v96
	s_delay_alu instid0(VALU_DEP_4) | instskip(SKIP_3) | instid1(VALU_DEP_3)
	v_dual_fmac_f32 v210, 0x3e9e377a, v208 :: v_dual_fmac_f32 v211, 0x3e9e377a, v93
	v_fmac_f32_e32 v230, 0xbf167918, v92
	v_fmac_f32_e32 v95, 0x3e9e377a, v75
	v_mul_f32_e32 v89, 0xbf167918, v72
	v_fmac_f32_e32 v230, 0x3e9e377a, v74
	v_fmamk_f32 v74, v205, 0xbf737871, v91
	s_delay_alu instid0(VALU_DEP_4) | instskip(NEXT) | instid1(VALU_DEP_3)
	v_dual_add_f32 v76, v86, v95 :: v_dual_fmac_f32 v91, 0x3f737871, v205
	v_dual_fmac_f32 v104, 0xbf167918, v94 :: v_dual_add_f32 v79, v230, v103
	s_delay_alu instid0(VALU_DEP_3) | instskip(NEXT) | instid1(VALU_DEP_3)
	v_dual_fmac_f32 v74, 0xbf167918, v97 :: v_dual_add_f32 v77, v87, v102
	v_fmac_f32_e32 v91, 0x3f167918, v97
	s_delay_alu instid0(VALU_DEP_3) | instskip(NEXT) | instid1(VALU_DEP_3)
	v_fmac_f32_e32 v104, 0x3e9e377a, v189
	v_fmac_f32_e32 v74, 0x3e9e377a, v100
	s_delay_alu instid0(VALU_DEP_3) | instskip(NEXT) | instid1(VALU_DEP_2)
	v_fmac_f32_e32 v91, 0x3e9e377a, v100
	v_fmac_f32_e32 v89, 0x3f4f1bbd, v74
	s_delay_alu instid0(VALU_DEP_1) | instskip(NEXT) | instid1(VALU_DEP_1)
	v_dual_mul_f32 v101, 0x3f167918, v74 :: v_dual_add_f32 v74, v210, v89
	v_dual_fmac_f32 v101, 0x3f4f1bbd, v72 :: v_dual_add_f32 v72, v82, v98
	s_delay_alu instid0(VALU_DEP_1)
	v_add_f32_e32 v75, v211, v101
	ds_store_b128 v203, v[72:75]
	ds_store_b128 v203, v[76:79] offset:16
	v_sub_f32_e32 v74, v82, v98
	v_sub_f32_e32 v78, v86, v95
	;; [unrolled: 1-line block ×3, first 2 shown]
	v_dual_mul_f32 v82, 0xbf4f1bbd, v104 :: v_dual_sub_f32 v75, v83, v99
	v_sub_f32_e32 v77, v211, v101
	s_delay_alu instid0(VALU_DEP_2) | instskip(NEXT) | instid1(VALU_DEP_1)
	v_dual_sub_f32 v79, v87, v102 :: v_dual_fmac_f32 v82, 0x3f167918, v91
	v_dual_add_f32 v73, v81, v82 :: v_dual_mul_f32 v80, 0xbf167918, v104
	s_delay_alu instid0(VALU_DEP_1) | instskip(NEXT) | instid1(VALU_DEP_1)
	v_fmac_f32_e32 v80, 0xbf4f1bbd, v91
	v_add_f32_e32 v72, v209, v80
	ds_store_b128 v203, v[72:75] offset:32
	ds_store_b128 v203, v[76:79] offset:48
	v_dual_sub_f32 v73, v230, v103 :: v_dual_sub_f32 v72, v84, v96
	v_sub_f32_e32 v74, v209, v80
	v_sub_f32_e32 v75, v81, v82
	ds_store_b128 v203, v[72:75] offset:64
	global_wb scope:SCOPE_SE
	s_wait_dscnt 0x0
	s_barrier_signal -1
	s_barrier_wait -1
	global_inv scope:SCOPE_SE
	ds_load_2addr_b64 v[74:77], v201 offset0:64 offset1:224
	ds_load_2addr_b64 v[78:81], v194 offset1:160
	s_wait_dscnt 0x1
	v_mul_f32_e32 v72, v1, v75
	v_mul_f32_e32 v1, v1, v74
	s_delay_alu instid0(VALU_DEP_2) | instskip(NEXT) | instid1(VALU_DEP_2)
	v_fmac_f32_e32 v72, v0, v74
	v_fma_f32 v73, v0, v75, -v1
	s_wait_dscnt 0x0
	v_mul_f32_e32 v74, v3, v79
	v_mul_f32_e32 v0, v3, v78
	;; [unrolled: 1-line block ×3, first 2 shown]
	s_delay_alu instid0(VALU_DEP_3) | instskip(NEXT) | instid1(VALU_DEP_3)
	v_dual_mul_f32 v1, v29, v76 :: v_dual_fmac_f32 v74, v2, v78
	v_fma_f32 v75, v2, v79, -v0
	v_mul_f32_e32 v2, v31, v81
	s_delay_alu instid0(VALU_DEP_4) | instskip(NEXT) | instid1(VALU_DEP_4)
	v_fma_f32 v3, v30, v81, -v3
	v_fma_f32 v1, v28, v77, -v1
	s_delay_alu instid0(VALU_DEP_3) | instskip(SKIP_2) | instid1(VALU_DEP_1)
	v_fmac_f32_e32 v2, v30, v80
	ds_load_2addr_b64 v[80:83], v193 offset1:160
	v_mul_f32_e32 v0, v29, v77
	v_fmac_f32_e32 v0, v28, v76
	ds_load_2addr_b64 v[76:79], v200 offset0:64 offset1:224
	s_wait_dscnt 0x1
	v_mul_f32_e32 v30, v7, v81
	s_delay_alu instid0(VALU_DEP_1) | instskip(SKIP_3) | instid1(VALU_DEP_2)
	v_fmac_f32_e32 v30, v6, v80
	s_wait_dscnt 0x0
	v_mul_f32_e32 v28, v5, v77
	v_mul_f32_e32 v5, v5, v76
	v_fmac_f32_e32 v28, v4, v76
	s_delay_alu instid0(VALU_DEP_2) | instskip(SKIP_2) | instid1(VALU_DEP_3)
	v_fma_f32 v29, v4, v77, -v5
	v_dual_mul_f32 v4, v7, v80 :: v_dual_mul_f32 v5, v21, v78
	v_mul_f32_e32 v7, v23, v82
	v_add_f32_e32 v89, v73, v29
	s_delay_alu instid0(VALU_DEP_3) | instskip(SKIP_4) | instid1(VALU_DEP_4)
	v_fma_f32 v31, v6, v81, -v4
	v_mul_f32_e32 v4, v21, v79
	v_fma_f32 v6, v20, v79, -v5
	v_mul_f32_e32 v5, v23, v83
	v_fma_f32 v7, v22, v83, -v7
	v_fmac_f32_e32 v4, v20, v78
	ds_load_2addr_b64 v[76:79], v199 offset0:64 offset1:224
	v_fmac_f32_e32 v5, v22, v82
	ds_load_2addr_b64 v[80:83], v196 offset1:160
	s_wait_dscnt 0x1
	v_mul_f32_e32 v21, v25, v77
	v_mul_f32_e32 v20, v25, v76
	s_wait_dscnt 0x0
	s_delay_alu instid0(VALU_DEP_2) | instskip(NEXT) | instid1(VALU_DEP_2)
	v_dual_mul_f32 v22, v27, v81 :: v_dual_fmac_f32 v21, v24, v76
	v_fma_f32 v24, v24, v77, -v20
	v_mul_f32_e32 v20, v27, v80
	s_delay_alu instid0(VALU_DEP_3) | instskip(NEXT) | instid1(VALU_DEP_3)
	v_fmac_f32_e32 v22, v26, v80
	v_add_f32_e32 v89, v89, v24
	s_delay_alu instid0(VALU_DEP_3) | instskip(SKIP_2) | instid1(VALU_DEP_2)
	v_fma_f32 v23, v26, v81, -v20
	v_mul_f32_e32 v20, v13, v79
	v_mul_f32_e32 v13, v13, v78
	v_dual_add_f32 v97, v31, v23 :: v_dual_fmac_f32 v20, v12, v78
	s_delay_alu instid0(VALU_DEP_2)
	v_fma_f32 v13, v12, v79, -v13
	v_mul_f32_e32 v12, v15, v83
	v_mul_f32_e32 v15, v15, v82
	ds_load_2addr_b64 v[76:79], v198 offset0:64 offset1:224
	v_fmac_f32_e32 v12, v14, v82
	v_fma_f32 v14, v14, v83, -v15
	ds_load_2addr_b64 v[80:83], v195 offset1:160
	s_wait_dscnt 0x1
	v_mul_f32_e32 v25, v9, v77
	v_mul_f32_e32 v9, v9, v76
	s_delay_alu instid0(VALU_DEP_2) | instskip(NEXT) | instid1(VALU_DEP_2)
	v_fmac_f32_e32 v25, v8, v76
	v_fma_f32 v76, v8, v77, -v9
	s_wait_dscnt 0x0
	v_mul_f32_e32 v8, v11, v80
	v_dual_mul_f32 v26, v11, v81 :: v_dual_mul_f32 v9, v17, v78
	v_mul_f32_e32 v11, v19, v82
	v_sub_f32_e32 v93, v24, v76
	s_delay_alu instid0(VALU_DEP_4) | instskip(SKIP_3) | instid1(VALU_DEP_3)
	v_fma_f32 v27, v10, v81, -v8
	v_dual_mul_f32 v8, v17, v79 :: v_dual_add_f32 v81, v24, v76
	v_fmac_f32_e32 v26, v10, v80
	v_fma_f32 v10, v16, v79, -v9
	v_dual_mul_f32 v9, v19, v83 :: v_dual_fmac_f32 v8, v16, v78
	ds_load_2addr_b64 v[77:80], v197 offset0:64 offset1:224
	v_fma_f32 v11, v18, v83, -v11
	v_sub_f32_e32 v19, v74, v30
	v_fmac_f32_e32 v9, v18, v82
	v_sub_f32_e32 v91, v21, v25
	v_fma_f32 v81, -0.5, v81, v73
	v_add_f32_e32 v89, v89, v76
	v_sub_f32_e32 v99, v75, v27
	s_wait_dscnt 0x0
	v_mul_f32_e32 v17, v146, v78
	v_dual_mul_f32 v15, v146, v77 :: v_dual_mul_f32 v16, v148, v79
	s_delay_alu instid0(VALU_DEP_2) | instskip(NEXT) | instid1(VALU_DEP_2)
	v_fmac_f32_e32 v17, v145, v77
	v_fma_f32 v18, v145, v78, -v15
	v_dual_mul_f32 v15, v148, v80 :: v_dual_sub_f32 v78, v27, v23
	s_delay_alu instid0(VALU_DEP_4) | instskip(SKIP_1) | instid1(VALU_DEP_3)
	v_fma_f32 v16, v147, v80, -v16
	v_sub_f32_e32 v100, v31, v23
	v_dual_sub_f32 v80, v18, v76 :: v_dual_fmac_f32 v15, v147, v79
	v_sub_f32_e32 v79, v17, v25
	v_sub_f32_e32 v77, v26, v22
	;; [unrolled: 1-line block ×3, first 2 shown]
	v_add_f32_e32 v147, v89, v18
	v_sub_f32_e32 v103, v30, v22
	s_delay_alu instid0(VALU_DEP_4) | instskip(SKIP_1) | instid1(VALU_DEP_1)
	v_add_f32_e32 v19, v19, v77
	v_sub_f32_e32 v77, v75, v31
	v_dual_add_f32 v77, v77, v78 :: v_dual_sub_f32 v78, v28, v21
	s_delay_alu instid0(VALU_DEP_1) | instskip(SKIP_1) | instid1(VALU_DEP_2)
	v_dual_add_f32 v78, v78, v79 :: v_dual_sub_f32 v79, v29, v24
	v_sub_f32_e32 v24, v24, v29
	v_dual_add_f32 v80, v79, v80 :: v_dual_add_f32 v79, v21, v25
	s_delay_alu instid0(VALU_DEP_1) | instskip(NEXT) | instid1(VALU_DEP_1)
	v_fma_f32 v79, -0.5, v79, v72
	v_fmamk_f32 v83, v92, 0xbf737871, v79
	s_delay_alu instid0(VALU_DEP_1) | instskip(NEXT) | instid1(VALU_DEP_1)
	v_fmac_f32_e32 v83, 0xbf167918, v93
	v_dual_fmac_f32 v83, 0x3e9e377a, v78 :: v_dual_sub_f32 v90, v28, v17
	s_delay_alu instid0(VALU_DEP_1) | instskip(NEXT) | instid1(VALU_DEP_1)
	v_fmamk_f32 v82, v90, 0x3f737871, v81
	v_fmac_f32_e32 v82, 0x3f167918, v91
	s_delay_alu instid0(VALU_DEP_1) | instskip(NEXT) | instid1(VALU_DEP_1)
	v_fmac_f32_e32 v82, 0x3e9e377a, v80
	v_mul_f32_e32 v94, 0xbf167918, v82
	s_delay_alu instid0(VALU_DEP_1) | instskip(NEXT) | instid1(VALU_DEP_1)
	v_dual_mul_f32 v95, 0x3f4f1bbd, v82 :: v_dual_fmac_f32 v94, 0x3f4f1bbd, v83
	v_fmac_f32_e32 v95, 0x3f167918, v83
	ds_load_2addr_b64 v[82:85], v192 offset1:160
	v_sub_f32_e32 v102, v74, v26
	global_wb scope:SCOPE_SE
	s_wait_dscnt 0x0
	s_barrier_signal -1
	s_barrier_wait -1
	global_inv scope:SCOPE_SE
	v_add_f32_e32 v87, v83, v75
	v_fma_f32 v97, -0.5, v97, v83
	s_delay_alu instid0(VALU_DEP_2) | instskip(NEXT) | instid1(VALU_DEP_2)
	v_dual_add_f32 v87, v87, v31 :: v_dual_add_f32 v86, v82, v74
	v_fmamk_f32 v104, v102, 0x3f737871, v97
	v_fmac_f32_e32 v79, 0x3f737871, v92
	s_delay_alu instid0(VALU_DEP_3) | instskip(NEXT) | instid1(VALU_DEP_4)
	v_dual_add_f32 v87, v87, v23 :: v_dual_add_f32 v96, v30, v22
	v_dual_add_f32 v86, v86, v30 :: v_dual_sub_f32 v23, v23, v27
	s_delay_alu instid0(VALU_DEP_3) | instskip(NEXT) | instid1(VALU_DEP_3)
	v_fmac_f32_e32 v79, 0x3f167918, v93
	v_add_f32_e32 v145, v87, v27
	s_delay_alu instid0(VALU_DEP_4) | instskip(SKIP_1) | instid1(VALU_DEP_4)
	v_fma_f32 v96, -0.5, v96, v82
	v_dual_add_f32 v88, v72, v28 :: v_dual_add_f32 v27, v75, v27
	v_fmac_f32_e32 v79, 0x3e9e377a, v78
	s_delay_alu instid0(VALU_DEP_4) | instskip(NEXT) | instid1(VALU_DEP_3)
	v_add_f32_e32 v87, v145, v147
	v_dual_fmamk_f32 v101, v99, 0xbf737871, v96 :: v_dual_add_f32 v88, v88, v21
	v_dual_sub_f32 v21, v21, v28 :: v_dual_fmac_f32 v104, 0x3f167918, v103
	s_delay_alu instid0(VALU_DEP_2) | instskip(SKIP_1) | instid1(VALU_DEP_4)
	v_dual_add_f32 v28, v28, v17 :: v_dual_fmac_f32 v101, 0xbf167918, v100
	v_add_f32_e32 v86, v86, v22
	v_add_f32_e32 v88, v88, v25
	v_fmac_f32_e32 v96, 0x3f737871, v99
	s_delay_alu instid0(VALU_DEP_4) | instskip(NEXT) | instid1(VALU_DEP_4)
	v_dual_sub_f32 v78, v7, v14 :: v_dual_fmac_f32 v101, 0x3e9e377a, v19
	v_add_f32_e32 v98, v86, v26
	s_delay_alu instid0(VALU_DEP_4)
	v_add_f32_e32 v146, v88, v17
	v_sub_f32_e32 v17, v25, v17
	v_add_f32_e32 v25, v29, v18
	v_sub_f32_e32 v18, v76, v18
	v_sub_f32_e32 v22, v22, v26
	v_add_f32_e32 v26, v74, v26
	v_dual_fmac_f32 v104, 0x3e9e377a, v77 :: v_dual_sub_f32 v29, v30, v74
	v_add_f32_e32 v86, v98, v146
	v_add_f32_e32 v88, v101, v94
	v_dual_add_f32 v17, v21, v17 :: v_dual_add_f32 v18, v24, v18
	v_fma_f32 v24, -0.5, v26, v82
	v_add_f32_e32 v89, v104, v95
	v_fmac_f32_e32 v73, -0.5, v25
	v_fma_f32 v26, -0.5, v27, v83
	v_fmac_f32_e32 v97, 0xbf737871, v102
	v_dual_fmamk_f32 v25, v100, 0x3f737871, v24 :: v_dual_add_f32 v22, v29, v22
	v_fmac_f32_e32 v24, 0xbf737871, v100
	s_delay_alu instid0(VALU_DEP_4) | instskip(NEXT) | instid1(VALU_DEP_4)
	v_fmamk_f32 v27, v103, 0xbf737871, v26
	v_fmac_f32_e32 v97, 0xbf167918, v103
	s_delay_alu instid0(VALU_DEP_4)
	v_fmac_f32_e32 v25, 0xbf167918, v99
	v_sub_f32_e32 v30, v31, v75
	ds_store_2addr_b64 v202, v[86:87], v[88:89] offset1:10
	v_fmac_f32_e32 v27, 0x3f167918, v102
	v_fmac_f32_e32 v97, 0x3e9e377a, v77
	;; [unrolled: 1-line block ×3, first 2 shown]
	v_dual_add_f32 v23, v30, v23 :: v_dual_fmac_f32 v72, -0.5, v28
	v_fmac_f32_e32 v81, 0xbf737871, v90
	v_sub_f32_e32 v77, v3, v11
	v_add_f32_e32 v75, v5, v12
	s_delay_alu instid0(VALU_DEP_4) | instskip(SKIP_3) | instid1(VALU_DEP_3)
	v_fmac_f32_e32 v27, 0x3e9e377a, v23
	v_fmamk_f32 v21, v93, 0x3f737871, v72
	v_fmac_f32_e32 v72, 0xbf737871, v93
	v_fmac_f32_e32 v81, 0xbf167918, v91
	;; [unrolled: 1-line block ×3, first 2 shown]
	s_delay_alu instid0(VALU_DEP_3) | instskip(NEXT) | instid1(VALU_DEP_3)
	v_fmac_f32_e32 v72, 0x3f167918, v92
	v_dual_fmac_f32 v81, 0x3e9e377a, v80 :: v_dual_sub_f32 v80, v2, v9
	s_delay_alu instid0(VALU_DEP_3) | instskip(NEXT) | instid1(VALU_DEP_3)
	v_fmac_f32_e32 v21, 0x3e9e377a, v17
	v_fmac_f32_e32 v72, 0x3e9e377a, v17
	v_fmamk_f32 v17, v91, 0xbf737871, v73
	v_fmac_f32_e32 v73, 0x3f737871, v91
	v_mul_f32_e32 v31, 0xbf4f1bbd, v81
	v_fmac_f32_e32 v96, 0x3f167918, v100
	s_delay_alu instid0(VALU_DEP_4) | instskip(NEXT) | instid1(VALU_DEP_3)
	v_dual_fmac_f32 v24, 0x3f167918, v99 :: v_dual_fmac_f32 v17, 0x3f167918, v90
	v_fmac_f32_e32 v31, 0x3f167918, v79
	v_fmac_f32_e32 v73, 0xbf167918, v90
	s_delay_alu instid0(VALU_DEP_3) | instskip(SKIP_2) | instid1(VALU_DEP_4)
	v_dual_fmac_f32 v96, 0x3e9e377a, v19 :: v_dual_fmac_f32 v17, 0x3e9e377a, v18
	v_mul_f32_e32 v19, 0xbf167918, v81
	v_sub_f32_e32 v81, v5, v12
	v_fmac_f32_e32 v73, 0x3e9e377a, v18
	s_delay_alu instid0(VALU_DEP_3) | instskip(SKIP_1) | instid1(VALU_DEP_3)
	v_fmac_f32_e32 v19, 0xbf4f1bbd, v79
	v_mul_f32_e32 v28, 0x3e9e377a, v17
	v_mul_f32_e32 v29, 0xbf737871, v73
	;; [unrolled: 1-line block ×3, first 2 shown]
	s_delay_alu instid0(VALU_DEP_3) | instskip(NEXT) | instid1(VALU_DEP_3)
	v_fmac_f32_e32 v28, 0x3f737871, v21
	v_fmac_f32_e32 v29, 0xbe9e377a, v72
	;; [unrolled: 1-line block ×3, first 2 shown]
	s_delay_alu instid0(VALU_DEP_4) | instskip(NEXT) | instid1(VALU_DEP_4)
	v_fmac_f32_e32 v30, 0x3f737871, v72
	v_add_f32_e32 v18, v27, v28
	s_delay_alu instid0(VALU_DEP_3) | instskip(NEXT) | instid1(VALU_DEP_1)
	v_fmac_f32_e32 v26, 0xbf167918, v102
	v_fmac_f32_e32 v26, 0x3e9e377a, v23
	v_mul_f32_e32 v23, 0xbf737871, v17
	v_fmac_f32_e32 v24, 0x3e9e377a, v22
	s_delay_alu instid0(VALU_DEP_2) | instskip(NEXT) | instid1(VALU_DEP_2)
	v_dual_add_f32 v22, v26, v30 :: v_dual_fmac_f32 v23, 0x3e9e377a, v21
	v_add_f32_e32 v21, v24, v29
	s_delay_alu instid0(VALU_DEP_2)
	v_add_f32_e32 v17, v25, v23
	ds_store_2addr_b64 v202, v[17:18], v[21:22] offset0:20 offset1:30
	v_dual_sub_f32 v17, v98, v146 :: v_dual_sub_f32 v18, v145, v147
	v_add_f32_e32 v21, v96, v19
	v_add_f32_e32 v22, v97, v31
	ds_store_2addr_b64 v202, v[21:22], v[17:18] offset0:40 offset1:50
	v_dual_sub_f32 v17, v101, v94 :: v_dual_sub_f32 v18, v104, v95
	v_dual_sub_f32 v21, v25, v23 :: v_dual_sub_f32 v22, v27, v28
	v_sub_f32_e32 v28, v4, v15
	ds_store_2addr_b64 v202, v[17:18], v[21:22] offset0:60 offset1:70
	v_sub_f32_e32 v18, v26, v30
	v_sub_f32_e32 v22, v97, v31
	v_dual_sub_f32 v30, v6, v16 :: v_dual_sub_f32 v21, v96, v19
	v_sub_f32_e32 v31, v13, v10
	v_sub_f32_e32 v17, v24, v29
	ds_store_2addr_b64 v202, v[17:18], v[21:22] offset0:80 offset1:90
	v_dual_sub_f32 v17, v2, v5 :: v_dual_sub_f32 v18, v9, v12
	v_dual_add_f32 v22, v1, v6 :: v_dual_add_f32 v21, v0, v4
	s_delay_alu instid0(VALU_DEP_2) | instskip(SKIP_1) | instid1(VALU_DEP_3)
	v_add_f32_e32 v19, v17, v18
	v_sub_f32_e32 v17, v3, v7
	v_dual_sub_f32 v18, v11, v14 :: v_dual_add_f32 v21, v21, v20
	s_delay_alu instid0(VALU_DEP_4) | instskip(NEXT) | instid1(VALU_DEP_2)
	v_dual_add_f32 v22, v22, v13 :: v_dual_sub_f32 v29, v20, v8
	v_add_f32_e32 v23, v17, v18
	v_sub_f32_e32 v17, v4, v20
	v_sub_f32_e32 v18, v15, v8
	s_delay_alu instid0(VALU_DEP_4) | instskip(NEXT) | instid1(VALU_DEP_2)
	v_add_f32_e32 v22, v22, v10
	v_dual_add_f32 v24, v17, v18 :: v_dual_sub_f32 v17, v6, v13
	v_sub_f32_e32 v18, v16, v10
	s_delay_alu instid0(VALU_DEP_1) | instskip(SKIP_1) | instid1(VALU_DEP_1)
	v_add_f32_e32 v25, v17, v18
	v_add_f32_e32 v17, v20, v8
	v_fma_f32 v26, -0.5, v17, v0
	v_add_f32_e32 v17, v13, v10
	v_dual_sub_f32 v13, v13, v6 :: v_dual_add_f32 v6, v6, v16
	v_add_f32_e32 v21, v21, v8
	v_add_f32_e32 v87, v22, v16
	s_delay_alu instid0(VALU_DEP_4) | instskip(SKIP_3) | instid1(VALU_DEP_4)
	v_fma_f32 v27, -0.5, v17, v1
	v_fmamk_f32 v18, v30, 0xbf737871, v26
	v_sub_f32_e32 v8, v8, v15
	v_add_f32_e32 v86, v21, v15
	v_dual_fmac_f32 v26, 0x3f737871, v30 :: v_dual_fmamk_f32 v17, v28, 0x3f737871, v27
	v_fmac_f32_e32 v27, 0xbf737871, v28
	v_dual_fmac_f32 v1, -0.5, v6 :: v_dual_sub_f32 v10, v10, v16
	s_delay_alu instid0(VALU_DEP_3) | instskip(NEXT) | instid1(VALU_DEP_3)
	v_fmac_f32_e32 v17, 0x3f167918, v29
	v_fmac_f32_e32 v27, 0xbf167918, v29
	s_delay_alu instid0(VALU_DEP_2) | instskip(NEXT) | instid1(VALU_DEP_1)
	v_fmac_f32_e32 v17, 0x3e9e377a, v25
	v_mul_f32_e32 v72, 0xbf167918, v17
	v_mul_f32_e32 v73, 0x3f4f1bbd, v17
	v_add_f32_e32 v17, v7, v14
	s_delay_alu instid0(VALU_DEP_1) | instskip(SKIP_1) | instid1(VALU_DEP_2)
	v_fma_f32 v74, -0.5, v17, v85
	v_add_f32_e32 v17, v84, v2
	v_fmamk_f32 v82, v80, 0x3f737871, v74
	s_delay_alu instid0(VALU_DEP_2) | instskip(SKIP_2) | instid1(VALU_DEP_3)
	v_dual_fmac_f32 v18, 0xbf167918, v31 :: v_dual_add_f32 v17, v17, v5
	v_fmac_f32_e32 v74, 0xbf737871, v80
	v_fmac_f32_e32 v26, 0x3f167918, v31
	v_dual_fmac_f32 v27, 0x3e9e377a, v25 :: v_dual_fmac_f32 v18, 0x3e9e377a, v24
	s_delay_alu instid0(VALU_DEP_4) | instskip(NEXT) | instid1(VALU_DEP_3)
	v_dual_add_f32 v17, v17, v12 :: v_dual_sub_f32 v12, v12, v9
	v_fmac_f32_e32 v26, 0x3e9e377a, v24
	s_delay_alu instid0(VALU_DEP_3) | instskip(NEXT) | instid1(VALU_DEP_3)
	v_fmac_f32_e32 v72, 0x3f4f1bbd, v18
	v_dual_fmac_f32 v73, 0x3f167918, v18 :: v_dual_add_f32 v76, v17, v9
	v_add_f32_e32 v18, v85, v3
	s_delay_alu instid0(VALU_DEP_1) | instskip(SKIP_1) | instid1(VALU_DEP_2)
	v_add_f32_e32 v18, v18, v7
	v_sub_f32_e32 v7, v7, v3
	v_dual_add_f32 v3, v3, v11 :: v_dual_add_f32 v18, v18, v14
	s_delay_alu instid0(VALU_DEP_1) | instskip(SKIP_2) | instid1(VALU_DEP_1)
	v_add_f32_e32 v83, v18, v11
	v_dual_sub_f32 v11, v14, v11 :: v_dual_sub_f32 v14, v20, v4
	v_add_f32_e32 v4, v4, v15
	v_dual_add_f32 v17, v76, v86 :: v_dual_fmac_f32 v0, -0.5, v4
	s_delay_alu instid0(VALU_DEP_3) | instskip(SKIP_3) | instid1(VALU_DEP_3)
	v_dual_add_f32 v4, v14, v8 :: v_dual_sub_f32 v5, v5, v2
	v_dual_add_f32 v2, v2, v9 :: v_dual_fmac_f32 v85, -0.5, v3
	v_add_f32_e32 v3, v7, v11
	v_mul_f32_e32 v11, 0xbf167918, v27
	v_fma_f32 v7, -0.5, v2, v84
	v_fmamk_f32 v2, v31, 0x3f737871, v0
	v_fmac_f32_e32 v0, 0xbf737871, v31
	s_delay_alu instid0(VALU_DEP_4)
	v_fmac_f32_e32 v11, 0xbf4f1bbd, v26
	v_add_f32_e32 v6, v13, v10
	v_fmamk_f32 v8, v78, 0x3f737871, v7
	v_fma_f32 v75, -0.5, v75, v84
	v_fmac_f32_e32 v7, 0xbf737871, v78
	v_fmac_f32_e32 v2, 0xbf167918, v30
	;; [unrolled: 1-line block ×4, first 2 shown]
	v_fmamk_f32 v79, v77, 0xbf737871, v75
	v_fmac_f32_e32 v75, 0x3f737871, v77
	v_fmac_f32_e32 v7, 0x3f167918, v77
	;; [unrolled: 1-line block ×3, first 2 shown]
	v_add_f32_e32 v5, v5, v12
	v_fmac_f32_e32 v0, 0x3e9e377a, v4
	v_fmac_f32_e32 v75, 0x3f167918, v78
	v_mul_f32_e32 v12, 0xbf4f1bbd, v27
	v_add_f32_e32 v18, v83, v87
	v_fmac_f32_e32 v8, 0x3e9e377a, v5
	v_fmac_f32_e32 v74, 0xbf167918, v81
	;; [unrolled: 1-line block ×4, first 2 shown]
	v_fmamk_f32 v5, v81, 0xbf737871, v85
	v_fmac_f32_e32 v85, 0x3f737871, v81
	v_fmac_f32_e32 v74, 0x3e9e377a, v23
	;; [unrolled: 1-line block ×3, first 2 shown]
	s_delay_alu instid0(VALU_DEP_4) | instskip(NEXT) | instid1(VALU_DEP_4)
	v_dual_fmac_f32 v82, 0x3f167918, v81 :: v_dual_fmac_f32 v5, 0x3f167918, v80
	v_fmac_f32_e32 v85, 0xbf167918, v80
	s_delay_alu instid0(VALU_DEP_2) | instskip(NEXT) | instid1(VALU_DEP_3)
	v_fmac_f32_e32 v82, 0x3e9e377a, v23
	v_fmac_f32_e32 v5, 0x3e9e377a, v3
	s_delay_alu instid0(VALU_DEP_3) | instskip(SKIP_2) | instid1(VALU_DEP_2)
	v_fmac_f32_e32 v85, 0x3e9e377a, v3
	v_fmamk_f32 v3, v29, 0xbf737871, v1
	v_fmac_f32_e32 v1, 0x3f737871, v29
	v_dual_add_f32 v22, v82, v73 :: v_dual_fmac_f32 v3, 0x3f167918, v28
	s_delay_alu instid0(VALU_DEP_2) | instskip(NEXT) | instid1(VALU_DEP_2)
	v_fmac_f32_e32 v1, 0xbf167918, v28
	v_fmac_f32_e32 v3, 0x3e9e377a, v6
	s_delay_alu instid0(VALU_DEP_2) | instskip(NEXT) | instid1(VALU_DEP_2)
	v_fmac_f32_e32 v1, 0x3e9e377a, v6
	v_mul_f32_e32 v4, 0xbf737871, v3
	v_mul_f32_e32 v6, 0x3e9e377a, v3
	s_delay_alu instid0(VALU_DEP_3) | instskip(SKIP_1) | instid1(VALU_DEP_4)
	v_mul_f32_e32 v9, 0xbf737871, v1
	v_mul_f32_e32 v10, 0xbe9e377a, v1
	v_fmac_f32_e32 v4, 0x3e9e377a, v2
	v_fmac_f32_e32 v79, 0xbf167918, v78
	;; [unrolled: 1-line block ×5, first 2 shown]
	s_delay_alu instid0(VALU_DEP_4) | instskip(NEXT) | instid1(VALU_DEP_3)
	v_dual_add_f32 v0, v8, v4 :: v_dual_fmac_f32 v79, 0x3e9e377a, v19
	v_dual_add_f32 v1, v5, v6 :: v_dual_add_f32 v2, v7, v9
	s_delay_alu instid0(VALU_DEP_3) | instskip(NEXT) | instid1(VALU_DEP_3)
	v_add_f32_e32 v3, v85, v10
	v_add_f32_e32 v21, v79, v72
	ds_store_2addr_b64 v204, v[0:1], v[2:3] offset0:20 offset1:30
	v_dual_sub_f32 v0, v76, v86 :: v_dual_sub_f32 v1, v83, v87
	v_dual_add_f32 v2, v75, v11 :: v_dual_add_f32 v3, v74, v12
	ds_store_2addr_b64 v204, v[17:18], v[21:22] offset1:10
	ds_store_2addr_b64 v204, v[2:3], v[0:1] offset0:40 offset1:50
	v_dual_sub_f32 v0, v79, v72 :: v_dual_sub_f32 v1, v82, v73
	v_dual_sub_f32 v2, v8, v4 :: v_dual_sub_f32 v3, v5, v6
	ds_store_2addr_b64 v204, v[0:1], v[2:3] offset0:60 offset1:70
	v_dual_sub_f32 v1, v85, v10 :: v_dual_sub_f32 v0, v7, v9
	v_dual_sub_f32 v2, v75, v11 :: v_dual_sub_f32 v3, v74, v12
	ds_store_2addr_b64 v204, v[0:1], v[2:3] offset0:80 offset1:90
	global_wb scope:SCOPE_SE
	s_wait_dscnt 0x0
	s_barrier_signal -1
	s_barrier_wait -1
	global_inv scope:SCOPE_SE
	ds_load_2addr_b64 v[0:3], v195 offset1:160
	s_wait_dscnt 0x0
	v_mul_f32_e32 v16, v152, v1
	v_mul_f32_e32 v18, v154, v3
	s_delay_alu instid0(VALU_DEP_2) | instskip(SKIP_1) | instid1(VALU_DEP_3)
	v_fmac_f32_e32 v16, v151, v0
	v_mul_f32_e32 v0, v152, v0
	v_fmac_f32_e32 v18, v153, v2
	s_delay_alu instid0(VALU_DEP_2) | instskip(SKIP_1) | instid1(VALU_DEP_1)
	v_fma_f32 v17, v151, v1, -v0
	v_mul_f32_e32 v0, v154, v2
	v_fma_f32 v19, v153, v3, -v0
	ds_load_2addr_b64 v[0:3], v197 offset0:64 offset1:224
	s_wait_dscnt 0x0
	v_mul_f32_e32 v20, v158, v1
	v_mul_f32_e32 v22, v156, v3
	s_delay_alu instid0(VALU_DEP_2) | instskip(SKIP_1) | instid1(VALU_DEP_3)
	v_fmac_f32_e32 v20, v157, v0
	v_mul_f32_e32 v0, v158, v0
	v_fmac_f32_e32 v22, v155, v2
	s_delay_alu instid0(VALU_DEP_2) | instskip(SKIP_1) | instid1(VALU_DEP_1)
	v_fma_f32 v21, v157, v1, -v0
	v_mul_f32_e32 v0, v156, v2
	v_fma_f32 v23, v155, v3, -v0
	ds_load_2addr_b64 v[0:3], v198 offset0:64 offset1:224
	s_wait_dscnt 0x0
	v_mul_f32_e32 v4, v150, v3
	v_mul_f32_e32 v24, v51, v1
	s_delay_alu instid0(VALU_DEP_2) | instskip(SKIP_1) | instid1(VALU_DEP_3)
	v_fmac_f32_e32 v4, v149, v2
	v_mul_f32_e32 v2, v150, v2
	v_fmac_f32_e32 v24, v50, v0
	v_mul_f32_e32 v0, v51, v0
	s_delay_alu instid0(VALU_DEP_3) | instskip(NEXT) | instid1(VALU_DEP_2)
	v_fma_f32 v5, v149, v3, -v2
	v_fma_f32 v25, v50, v1, -v0
	ds_load_2addr_b64 v[0:3], v193 offset1:160
	s_wait_dscnt 0x0
	v_mul_f32_e32 v26, v49, v3
	v_mul_f32_e32 v28, v45, v1
	s_delay_alu instid0(VALU_DEP_2) | instskip(SKIP_1) | instid1(VALU_DEP_3)
	v_fmac_f32_e32 v26, v48, v2
	v_mul_f32_e32 v2, v49, v2
	v_fmac_f32_e32 v28, v44, v0
	v_mul_f32_e32 v0, v45, v0
	s_delay_alu instid0(VALU_DEP_3) | instskip(NEXT) | instid1(VALU_DEP_2)
	v_fma_f32 v27, v48, v3, -v2
	v_fma_f32 v29, v44, v1, -v0
	ds_load_2addr_b64 v[0:3], v196 offset1:160
	s_wait_dscnt 0x0
	v_mul_f32_e32 v30, v47, v3
	v_mul_f32_e32 v44, v43, v1
	s_delay_alu instid0(VALU_DEP_2) | instskip(SKIP_1) | instid1(VALU_DEP_3)
	v_fmac_f32_e32 v30, v46, v2
	v_mul_f32_e32 v2, v47, v2
	v_fmac_f32_e32 v44, v42, v0
	v_mul_f32_e32 v0, v43, v0
	s_delay_alu instid0(VALU_DEP_3) | instskip(NEXT) | instid1(VALU_DEP_2)
	v_fma_f32 v31, v46, v3, -v2
	v_fma_f32 v42, v42, v1, -v0
	ds_load_2addr_b64 v[0:3], v200 offset0:64 offset1:224
	s_wait_dscnt 0x0
	v_mul_f32_e32 v43, v41, v3
	s_delay_alu instid0(VALU_DEP_1) | instskip(SKIP_2) | instid1(VALU_DEP_2)
	v_fmac_f32_e32 v43, v40, v2
	v_mul_f32_e32 v2, v41, v2
	v_mul_f32_e32 v41, v37, v1
	v_fma_f32 v40, v40, v3, -v2
	s_delay_alu instid0(VALU_DEP_2) | instskip(SKIP_1) | instid1(VALU_DEP_1)
	v_fmac_f32_e32 v41, v36, v0
	v_mul_f32_e32 v0, v37, v0
	v_fma_f32 v36, v36, v1, -v0
	ds_load_2addr_b64 v[0:3], v199 offset0:64 offset1:224
	s_wait_dscnt 0x0
	v_mul_f32_e32 v37, v39, v3
	s_delay_alu instid0(VALU_DEP_1) | instskip(SKIP_1) | instid1(VALU_DEP_2)
	v_dual_mul_f32 v6, v35, v1 :: v_dual_fmac_f32 v37, v38, v2
	v_mul_f32_e32 v2, v39, v2
	v_fmac_f32_e32 v6, v34, v0
	v_mul_f32_e32 v0, v35, v0
	s_delay_alu instid0(VALU_DEP_3) | instskip(NEXT) | instid1(VALU_DEP_2)
	v_fma_f32 v38, v38, v3, -v2
	v_fma_f32 v7, v34, v1, -v0
	ds_load_2addr_b64 v[0:3], v194 offset1:160
	s_wait_dscnt 0x0
	v_mul_f32_e32 v8, v33, v3
	s_delay_alu instid0(VALU_DEP_1) | instskip(NEXT) | instid1(VALU_DEP_1)
	v_fmac_f32_e32 v8, v32, v2
	v_dual_mul_f32 v2, v33, v2 :: v_dual_sub_f32 v11, v8, v4
	s_delay_alu instid0(VALU_DEP_1) | instskip(NEXT) | instid1(VALU_DEP_2)
	v_fma_f32 v9, v32, v3, -v2
	v_fma_f32 v8, v8, 2.0, -v11
	s_delay_alu instid0(VALU_DEP_2) | instskip(SKIP_4) | instid1(VALU_DEP_1)
	v_sub_f32_e32 v10, v9, v5
	ds_load_2addr_b64 v[2:5], v192 offset1:160
	v_fma_f32 v9, v9, 2.0, -v10
	s_wait_dscnt 0x0
	v_dual_sub_f32 v6, v2, v6 :: v_dual_sub_f32 v7, v3, v7
	v_fma_f32 v12, v2, 2.0, -v6
	s_delay_alu instid0(VALU_DEP_2) | instskip(SKIP_1) | instid1(VALU_DEP_2)
	v_fma_f32 v13, v3, 2.0, -v7
	v_dual_add_f32 v10, v6, v10 :: v_dual_sub_f32 v11, v7, v11
	v_dual_sub_f32 v2, v12, v8 :: v_dual_sub_f32 v3, v13, v9
	s_delay_alu instid0(VALU_DEP_2) | instskip(NEXT) | instid1(VALU_DEP_3)
	v_fma_f32 v14, v6, 2.0, -v10
	v_fma_f32 v15, v7, 2.0, -v11
	ds_load_2addr_b64 v[6:9], v201 offset0:64 offset1:224
	v_fma_f32 v12, v12, 2.0, -v2
	v_fma_f32 v13, v13, 2.0, -v3
	global_wb scope:SCOPE_SE
	s_wait_dscnt 0x0
	s_barrier_signal -1
	s_barrier_wait -1
	global_inv scope:SCOPE_SE
	ds_store_2addr_b64 v214, v[12:13], v[14:15] offset1:100
	scratch_load_b32 v12, off, off offset:24 th:TH_LOAD_LU ; 4-byte Folded Reload
	v_sub_f32_e32 v13, v5, v38
	s_wait_loadcnt 0x0
	ds_store_2addr_b64 v12, v[2:3], v[10:11] offset0:72 offset1:172
	v_sub_f32_e32 v12, v4, v37
	v_fma_f32 v11, v5, 2.0, -v13
	v_sub_f32_e32 v5, v41, v16
	s_delay_alu instid0(VALU_DEP_3) | instskip(SKIP_1) | instid1(VALU_DEP_3)
	v_fma_f32 v10, v4, 2.0, -v12
	v_sub_f32_e32 v4, v36, v17
	v_fma_f32 v2, v41, 2.0, -v5
	v_sub_f32_e32 v5, v13, v5
	s_delay_alu instid0(VALU_DEP_3) | instskip(NEXT) | instid1(VALU_DEP_3)
	v_fma_f32 v3, v36, 2.0, -v4
	v_sub_f32_e32 v2, v10, v2
	v_add_f32_e32 v4, v12, v4
	s_delay_alu instid0(VALU_DEP_4) | instskip(NEXT) | instid1(VALU_DEP_4)
	v_fma_f32 v13, v13, 2.0, -v5
	v_sub_f32_e32 v3, v11, v3
	s_delay_alu instid0(VALU_DEP_4) | instskip(NEXT) | instid1(VALU_DEP_4)
	v_fma_f32 v10, v10, 2.0, -v2
	v_fma_f32 v12, v12, 2.0, -v4
	s_delay_alu instid0(VALU_DEP_3) | instskip(SKIP_3) | instid1(VALU_DEP_1)
	v_fma_f32 v11, v11, 2.0, -v3
	ds_store_2addr_b64 v216, v[10:11], v[12:13] offset1:100
	scratch_load_b32 v10, off, off offset:20 th:TH_LOAD_LU ; 4-byte Folded Reload
	v_sub_f32_e32 v11, v7, v42
	v_fma_f32 v7, v7, 2.0, -v11
	s_wait_loadcnt 0x0
	ds_store_2addr_b64 v10, v[2:3], v[4:5] offset0:72 offset1:172
	v_dual_sub_f32 v5, v43, v18 :: v_dual_sub_f32 v4, v40, v19
	v_sub_f32_e32 v10, v6, v44
	s_delay_alu instid0(VALU_DEP_2) | instskip(NEXT) | instid1(VALU_DEP_3)
	v_fma_f32 v2, v43, 2.0, -v5
	v_fma_f32 v3, v40, 2.0, -v4
	s_delay_alu instid0(VALU_DEP_3) | instskip(SKIP_1) | instid1(VALU_DEP_2)
	v_fma_f32 v6, v6, 2.0, -v10
	v_dual_add_f32 v4, v10, v4 :: v_dual_sub_f32 v5, v11, v5
	v_dual_sub_f32 v3, v7, v3 :: v_dual_sub_f32 v2, v6, v2
	s_delay_alu instid0(VALU_DEP_2) | instskip(NEXT) | instid1(VALU_DEP_3)
	v_fma_f32 v10, v10, 2.0, -v4
	v_fma_f32 v11, v11, 2.0, -v5
	s_delay_alu instid0(VALU_DEP_3) | instskip(NEXT) | instid1(VALU_DEP_4)
	v_fma_f32 v7, v7, 2.0, -v3
	v_fma_f32 v6, v6, 2.0, -v2
	ds_store_2addr_b64 v190, v[6:7], v[10:11] offset1:100
	scratch_load_b32 v6, off, off offset:16 th:TH_LOAD_LU ; 4-byte Folded Reload
	v_dual_sub_f32 v10, v8, v30 :: v_dual_sub_f32 v11, v9, v31
	s_delay_alu instid0(VALU_DEP_1) | instskip(SKIP_4) | instid1(VALU_DEP_2)
	v_fma_f32 v7, v9, 2.0, -v11
	s_wait_loadcnt 0x0
	ds_store_2addr_b64 v6, v[2:3], v[4:5] offset0:72 offset1:172
	v_dual_sub_f32 v5, v28, v20 :: v_dual_sub_f32 v4, v29, v21
	v_fma_f32 v6, v8, 2.0, -v10
	v_fma_f32 v2, v28, 2.0, -v5
	s_delay_alu instid0(VALU_DEP_3) | instskip(SKIP_1) | instid1(VALU_DEP_2)
	v_fma_f32 v3, v29, 2.0, -v4
	v_dual_add_f32 v4, v10, v4 :: v_dual_sub_f32 v5, v11, v5
	v_dual_sub_f32 v2, v6, v2 :: v_dual_sub_f32 v3, v7, v3
	s_delay_alu instid0(VALU_DEP_2) | instskip(NEXT) | instid1(VALU_DEP_3)
	v_fma_f32 v8, v10, 2.0, -v4
	v_fma_f32 v9, v11, 2.0, -v5
	s_delay_alu instid0(VALU_DEP_3) | instskip(NEXT) | instid1(VALU_DEP_4)
	v_fma_f32 v6, v6, 2.0, -v2
	v_fma_f32 v7, v7, 2.0, -v3
	ds_store_2addr_b64 v207, v[6:7], v[8:9] offset1:100
	scratch_load_b32 v6, off, off offset:12 th:TH_LOAD_LU ; 4-byte Folded Reload
	v_sub_f32_e32 v7, v1, v25
	s_wait_loadcnt 0x0
	ds_store_2addr_b64 v6, v[2:3], v[4:5] offset0:72 offset1:172
	v_dual_sub_f32 v6, v0, v24 :: v_dual_sub_f32 v3, v26, v22
	v_sub_f32_e32 v2, v27, v23
	v_fma_f32 v5, v1, 2.0, -v7
	s_delay_alu instid0(VALU_DEP_3) | instskip(NEXT) | instid1(VALU_DEP_4)
	v_fma_f32 v4, v0, 2.0, -v6
	v_fma_f32 v0, v26, 2.0, -v3
	s_delay_alu instid0(VALU_DEP_4) | instskip(SKIP_1) | instid1(VALU_DEP_2)
	v_fma_f32 v1, v27, 2.0, -v2
	v_dual_add_f32 v2, v6, v2 :: v_dual_sub_f32 v3, v7, v3
	v_dual_sub_f32 v0, v4, v0 :: v_dual_sub_f32 v1, v5, v1
	s_delay_alu instid0(VALU_DEP_2) | instskip(NEXT) | instid1(VALU_DEP_3)
	v_fma_f32 v6, v6, 2.0, -v2
	v_fma_f32 v7, v7, 2.0, -v3
	s_delay_alu instid0(VALU_DEP_3) | instskip(NEXT) | instid1(VALU_DEP_4)
	v_fma_f32 v4, v4, 2.0, -v0
	v_fma_f32 v5, v5, 2.0, -v1
	ds_store_2addr_b64 v215, v[4:5], v[6:7] offset1:100
	scratch_load_b32 v4, off, off offset:8 th:TH_LOAD_LU ; 4-byte Folded Reload
	s_wait_loadcnt 0x0
	ds_store_2addr_b64 v4, v[0:1], v[2:3] offset0:72 offset1:172
	global_wb scope:SCOPE_SE
	s_wait_dscnt 0x0
	s_barrier_signal -1
	s_barrier_wait -1
	global_inv scope:SCOPE_SE
	ds_load_2addr_b64 v[0:3], v195 offset1:160
	s_wait_dscnt 0x0
	v_mul_f32_e32 v12, v186, v1
	v_mul_f32_e32 v14, v184, v3
	s_delay_alu instid0(VALU_DEP_2) | instskip(SKIP_1) | instid1(VALU_DEP_3)
	v_fmac_f32_e32 v12, v185, v0
	v_mul_f32_e32 v0, v186, v0
	v_fmac_f32_e32 v14, v183, v2
	s_delay_alu instid0(VALU_DEP_2) | instskip(SKIP_1) | instid1(VALU_DEP_1)
	v_fma_f32 v13, v185, v1, -v0
	v_mul_f32_e32 v0, v184, v2
	v_fma_f32 v15, v183, v3, -v0
	ds_load_2addr_b64 v[0:3], v197 offset0:64 offset1:224
	s_wait_dscnt 0x0
	v_mul_f32_e32 v16, v188, v1
	v_mul_f32_e32 v18, v182, v3
	s_delay_alu instid0(VALU_DEP_2) | instskip(SKIP_1) | instid1(VALU_DEP_3)
	v_fmac_f32_e32 v16, v187, v0
	v_mul_f32_e32 v0, v188, v0
	v_fmac_f32_e32 v18, v181, v2
	s_delay_alu instid0(VALU_DEP_2) | instskip(SKIP_1) | instid1(VALU_DEP_1)
	v_fma_f32 v17, v187, v1, -v0
	v_mul_f32_e32 v0, v182, v2
	v_fma_f32 v19, v181, v3, -v0
	ds_load_2addr_b64 v[0:3], v198 offset0:64 offset1:224
	s_wait_dscnt 0x0
	v_mul_f32_e32 v6, v162, v3
	v_mul_f32_e32 v20, v71, v1
	s_delay_alu instid0(VALU_DEP_2) | instskip(SKIP_1) | instid1(VALU_DEP_3)
	v_fmac_f32_e32 v6, v161, v2
	v_mul_f32_e32 v2, v162, v2
	v_fmac_f32_e32 v20, v70, v0
	v_mul_f32_e32 v0, v71, v0
	s_delay_alu instid0(VALU_DEP_3) | instskip(NEXT) | instid1(VALU_DEP_2)
	v_fma_f32 v7, v161, v3, -v2
	v_fma_f32 v21, v70, v1, -v0
	ds_load_2addr_b64 v[0:3], v193 offset1:160
	s_wait_dscnt 0x0
	v_mul_f32_e32 v22, v69, v3
	v_mul_f32_e32 v24, v65, v1
	s_delay_alu instid0(VALU_DEP_2) | instskip(SKIP_1) | instid1(VALU_DEP_3)
	v_fmac_f32_e32 v22, v68, v2
	v_mul_f32_e32 v2, v69, v2
	v_fmac_f32_e32 v24, v64, v0
	v_mul_f32_e32 v0, v65, v0
	s_delay_alu instid0(VALU_DEP_3) | instskip(NEXT) | instid1(VALU_DEP_2)
	v_fma_f32 v23, v68, v3, -v2
	v_fma_f32 v25, v64, v1, -v0
	ds_load_2addr_b64 v[0:3], v196 offset1:160
	s_wait_dscnt 0x0
	v_mul_f32_e32 v26, v67, v3
	v_mul_f32_e32 v28, v63, v1
	s_delay_alu instid0(VALU_DEP_2) | instskip(SKIP_1) | instid1(VALU_DEP_3)
	v_fmac_f32_e32 v26, v66, v2
	v_mul_f32_e32 v2, v67, v2
	v_fmac_f32_e32 v28, v62, v0
	v_mul_f32_e32 v0, v63, v0
	s_delay_alu instid0(VALU_DEP_3) | instskip(NEXT) | instid1(VALU_DEP_2)
	v_fma_f32 v27, v66, v3, -v2
	v_fma_f32 v29, v62, v1, -v0
	ds_load_2addr_b64 v[0:3], v200 offset0:64 offset1:224
	s_wait_dscnt 0x0
	v_mul_f32_e32 v30, v61, v3
	v_mul_f32_e32 v32, v57, v1
	s_delay_alu instid0(VALU_DEP_2) | instskip(SKIP_1) | instid1(VALU_DEP_3)
	v_fmac_f32_e32 v30, v60, v2
	v_mul_f32_e32 v2, v61, v2
	v_fmac_f32_e32 v32, v56, v0
	v_mul_f32_e32 v0, v57, v0
	s_delay_alu instid0(VALU_DEP_3) | instskip(NEXT) | instid1(VALU_DEP_3)
	v_fma_f32 v31, v60, v3, -v2
	v_sub_f32_e32 v12, v32, v12
	s_delay_alu instid0(VALU_DEP_3) | instskip(SKIP_4) | instid1(VALU_DEP_2)
	v_fma_f32 v33, v56, v1, -v0
	ds_load_2addr_b64 v[0:3], v199 offset0:64 offset1:224
	s_wait_dscnt 0x0
	v_dual_sub_f32 v13, v33, v13 :: v_dual_mul_f32 v8, v59, v3
	v_mul_f32_e32 v10, v55, v1
	v_fmac_f32_e32 v8, v58, v2
	v_mul_f32_e32 v2, v59, v2
	s_delay_alu instid0(VALU_DEP_3) | instskip(SKIP_1) | instid1(VALU_DEP_3)
	v_fmac_f32_e32 v10, v54, v0
	v_mul_f32_e32 v0, v55, v0
	v_fma_f32 v9, v58, v3, -v2
	s_delay_alu instid0(VALU_DEP_2) | instskip(SKIP_4) | instid1(VALU_DEP_2)
	v_fma_f32 v11, v54, v1, -v0
	ds_load_2addr_b64 v[0:3], v194 offset1:160
	s_wait_dscnt 0x0
	v_mul_f32_e32 v34, v53, v3
	v_dual_sub_f32 v20, v0, v20 :: v_dual_sub_f32 v21, v1, v21
	v_fmac_f32_e32 v34, v52, v2
	v_mul_f32_e32 v2, v53, v2
	s_delay_alu instid0(VALU_DEP_1) | instskip(SKIP_4) | instid1(VALU_DEP_2)
	v_fma_f32 v35, v52, v3, -v2
	ds_load_2addr_b64 v[2:5], v192 offset1:160
	s_wait_dscnt 0x0
	v_dual_sub_f32 v10, v2, v10 :: v_dual_sub_f32 v11, v3, v11
	v_dual_sub_f32 v36, v4, v8 :: v_dual_sub_f32 v37, v5, v9
	v_fma_f32 v38, v2, 2.0, -v10
	s_delay_alu instid0(VALU_DEP_3) | instskip(SKIP_1) | instid1(VALU_DEP_4)
	v_fma_f32 v39, v3, 2.0, -v11
	v_dual_sub_f32 v2, v34, v6 :: v_dual_sub_f32 v3, v35, v7
	v_fma_f32 v40, v4, 2.0, -v36
	v_fma_f32 v41, v5, 2.0, -v37
	s_delay_alu instid0(VALU_DEP_3) | instskip(NEXT) | instid1(VALU_DEP_4)
	v_fma_f32 v4, v34, 2.0, -v2
	v_dual_sub_f32 v7, v11, v2 :: v_dual_add_f32 v6, v10, v3
	v_fma_f32 v2, v35, 2.0, -v3
	s_delay_alu instid0(VALU_DEP_2) | instskip(NEXT) | instid1(VALU_DEP_3)
	v_fma_f32 v9, v11, 2.0, -v7
	v_fma_f32 v8, v10, 2.0, -v6
	s_delay_alu instid0(VALU_DEP_3)
	v_dual_sub_f32 v10, v38, v4 :: v_dual_sub_f32 v11, v39, v2
	ds_load_2addr_b64 v[2:5], v201 offset0:64 offset1:224
	global_wb scope:SCOPE_SE
	s_wait_dscnt 0x0
	s_barrier_signal -1
	s_barrier_wait -1
	global_inv scope:SCOPE_SE
	ds_store_b64 v192, v[8:9] offset:3200
	ds_store_b64 v192, v[10:11] offset:6400
	;; [unrolled: 1-line block ×3, first 2 shown]
	v_fma_f32 v6, v32, 2.0, -v12
	v_fma_f32 v7, v33, 2.0, -v13
	;; [unrolled: 1-line block ×5, first 2 shown]
	s_delay_alu instid0(VALU_DEP_4) | instskip(SKIP_2) | instid1(VALU_DEP_3)
	v_dual_sub_f32 v6, v40, v6 :: v_dual_sub_f32 v7, v41, v7
	v_fma_f32 v33, v1, 2.0, -v21
	v_dual_add_f32 v0, v36, v13 :: v_dual_sub_f32 v1, v37, v12
	v_fma_f32 v10, v40, 2.0, -v6
	s_delay_alu instid0(VALU_DEP_4) | instskip(SKIP_4) | instid1(VALU_DEP_2)
	v_fma_f32 v11, v41, 2.0, -v7
	v_dual_sub_f32 v12, v22, v18 :: v_dual_sub_f32 v13, v23, v19
	ds_store_2addr_b64 v192, v[8:9], v[10:11] offset1:160
	v_dual_sub_f32 v8, v2, v28 :: v_dual_sub_f32 v9, v3, v29
	v_dual_sub_f32 v10, v4, v26 :: v_dual_sub_f32 v11, v5, v27
	v_fma_f32 v26, v2, 2.0, -v8
	s_delay_alu instid0(VALU_DEP_3)
	v_fma_f32 v27, v3, 2.0, -v9
	v_fma_f32 v2, v36, 2.0, -v0
	;; [unrolled: 1-line block ×3, first 2 shown]
	ds_store_b64 v192, v[2:3] offset:4480
	ds_store_b64 v192, v[6:7] offset:7680
	;; [unrolled: 1-line block ×3, first 2 shown]
	v_dual_sub_f32 v3, v30, v14 :: v_dual_sub_f32 v2, v31, v15
	v_fma_f32 v28, v4, 2.0, -v10
	v_fma_f32 v29, v5, 2.0, -v11
	s_delay_alu instid0(VALU_DEP_3) | instskip(NEXT) | instid1(VALU_DEP_4)
	v_fma_f32 v0, v30, 2.0, -v3
	v_fma_f32 v1, v31, 2.0, -v2
	v_dual_add_f32 v2, v8, v2 :: v_dual_sub_f32 v3, v9, v3
	s_delay_alu instid0(VALU_DEP_2) | instskip(NEXT) | instid1(VALU_DEP_2)
	v_dual_sub_f32 v0, v26, v0 :: v_dual_sub_f32 v1, v27, v1
	v_fma_f32 v6, v8, 2.0, -v2
	s_delay_alu instid0(VALU_DEP_3) | instskip(SKIP_1) | instid1(VALU_DEP_4)
	v_fma_f32 v7, v9, 2.0, -v3
	v_sub_f32_e32 v8, v24, v16
	v_fma_f32 v4, v26, 2.0, -v0
	v_fma_f32 v5, v27, 2.0, -v1
	v_sub_f32_e32 v9, v25, v17
	ds_store_b64 v218, v[4:5]
	ds_store_b64 v218, v[6:7] offset:3200
	ds_store_b64 v218, v[0:1] offset:6400
	;; [unrolled: 1-line block ×3, first 2 shown]
	v_fma_f32 v0, v24, 2.0, -v8
	v_fma_f32 v1, v25, 2.0, -v9
	;; [unrolled: 1-line block ×4, first 2 shown]
	s_delay_alu instid0(VALU_DEP_3) | instskip(NEXT) | instid1(VALU_DEP_2)
	v_dual_sub_f32 v0, v28, v0 :: v_dual_sub_f32 v1, v29, v1
	v_dual_sub_f32 v2, v32, v2 :: v_dual_sub_f32 v3, v33, v3
	s_delay_alu instid0(VALU_DEP_2) | instskip(NEXT) | instid1(VALU_DEP_3)
	v_fma_f32 v4, v28, 2.0, -v0
	v_fma_f32 v5, v29, 2.0, -v1
	s_delay_alu instid0(VALU_DEP_3) | instskip(NEXT) | instid1(VALU_DEP_4)
	v_fma_f32 v6, v32, 2.0, -v2
	v_fma_f32 v7, v33, 2.0, -v3
	ds_store_2addr_b64 v217, v[4:5], v[6:7] offset0:16 offset1:176
	ds_store_2addr_b64 v219, v[0:1], v[2:3] offset0:48 offset1:208
	v_dual_add_f32 v0, v10, v9 :: v_dual_sub_f32 v1, v11, v8
	v_dual_add_f32 v2, v20, v13 :: v_dual_sub_f32 v3, v21, v12
	s_delay_alu instid0(VALU_DEP_2) | instskip(NEXT) | instid1(VALU_DEP_3)
	v_fma_f32 v4, v10, 2.0, -v0
	v_fma_f32 v5, v11, 2.0, -v1
	s_delay_alu instid0(VALU_DEP_3) | instskip(NEXT) | instid1(VALU_DEP_4)
	v_fma_f32 v6, v20, 2.0, -v2
	v_fma_f32 v7, v21, 2.0, -v3
	ds_store_2addr_b64 v206, v[4:5], v[6:7] offset0:32 offset1:192
	ds_store_2addr_b64 v197, v[0:1], v[2:3] offset0:64 offset1:224
	global_wb scope:SCOPE_SE
	s_wait_dscnt 0x0
	s_barrier_signal -1
	s_barrier_wait -1
	global_inv scope:SCOPE_SE
	ds_load_2addr_b64 v[0:3], v199 offset0:64 offset1:224
	s_wait_dscnt 0x0
	v_mul_f32_e32 v4, v160, v1
	v_mul_f32_e32 v6, v170, v3
	s_delay_alu instid0(VALU_DEP_2) | instskip(SKIP_1) | instid1(VALU_DEP_3)
	v_fmac_f32_e32 v4, v159, v0
	v_mul_f32_e32 v0, v160, v0
	v_fmac_f32_e32 v6, v169, v2
	s_delay_alu instid0(VALU_DEP_2) | instskip(SKIP_1) | instid1(VALU_DEP_1)
	v_fma_f32 v5, v159, v1, -v0
	v_mul_f32_e32 v0, v170, v2
	v_fma_f32 v7, v169, v3, -v0
	ds_load_2addr_b64 v[0:3], v196 offset1:160
	s_wait_dscnt 0x0
	v_mul_f32_e32 v22, v164, v1
	v_mul_f32_e32 v24, v166, v3
	s_delay_alu instid0(VALU_DEP_2) | instskip(SKIP_1) | instid1(VALU_DEP_3)
	v_fmac_f32_e32 v22, v163, v0
	v_mul_f32_e32 v0, v164, v0
	v_fmac_f32_e32 v24, v165, v2
	s_delay_alu instid0(VALU_DEP_2) | instskip(SKIP_1) | instid1(VALU_DEP_1)
	v_fma_f32 v23, v163, v1, -v0
	v_mul_f32_e32 v0, v166, v2
	v_fma_f32 v25, v165, v3, -v0
	ds_load_2addr_b64 v[0:3], v198 offset0:64 offset1:224
	s_wait_dscnt 0x0
	v_mul_f32_e32 v26, v176, v1
	v_mul_f32_e32 v28, v172, v3
	s_delay_alu instid0(VALU_DEP_2) | instskip(SKIP_1) | instid1(VALU_DEP_3)
	v_fmac_f32_e32 v26, v175, v0
	v_mul_f32_e32 v0, v176, v0
	v_fmac_f32_e32 v28, v171, v2
	s_delay_alu instid0(VALU_DEP_2) | instskip(SKIP_1) | instid1(VALU_DEP_1)
	v_fma_f32 v27, v175, v1, -v0
	v_mul_f32_e32 v0, v172, v2
	v_fma_f32 v29, v171, v3, -v0
	ds_load_2addr_b64 v[0:3], v195 offset1:160
	s_wait_dscnt 0x0
	v_mul_f32_e32 v30, v174, v1
	v_mul_f32_e32 v32, v168, v3
	s_delay_alu instid0(VALU_DEP_2) | instskip(SKIP_1) | instid1(VALU_DEP_3)
	v_fmac_f32_e32 v30, v173, v0
	v_mul_f32_e32 v0, v174, v0
	v_fmac_f32_e32 v32, v167, v2
	s_delay_alu instid0(VALU_DEP_2) | instskip(SKIP_1) | instid1(VALU_DEP_1)
	v_fma_f32 v31, v173, v1, -v0
	v_mul_f32_e32 v0, v168, v2
	v_fma_f32 v33, v167, v3, -v0
	ds_load_2addr_b64 v[0:3], v197 offset0:64 offset1:224
	s_wait_dscnt 0x0
	v_mul_f32_e32 v34, v178, v1
	v_mul_f32_e32 v36, v180, v3
	s_delay_alu instid0(VALU_DEP_2) | instskip(SKIP_1) | instid1(VALU_DEP_3)
	v_fmac_f32_e32 v34, v177, v0
	v_mul_f32_e32 v0, v178, v0
	v_fmac_f32_e32 v36, v179, v2
	s_delay_alu instid0(VALU_DEP_2) | instskip(SKIP_1) | instid1(VALU_DEP_1)
	v_fma_f32 v35, v177, v1, -v0
	v_mul_f32_e32 v0, v180, v2
	v_fma_f32 v37, v179, v3, -v0
	ds_load_2addr_b64 v[0:3], v192 offset1:160
	s_wait_dscnt 0x0
	v_dual_sub_f32 v4, v0, v4 :: v_dual_sub_f32 v5, v1, v5
	v_dual_sub_f32 v16, v2, v6 :: v_dual_sub_f32 v17, v3, v7
	s_delay_alu instid0(VALU_DEP_2)
	v_fma_f32 v18, v0, 2.0, -v4
	ds_store_b64 v192, v[4:5] offset:12800
	v_fma_f32 v19, v1, 2.0, -v5
	v_fma_f32 v20, v2, 2.0, -v16
	;; [unrolled: 1-line block ×3, first 2 shown]
	ds_load_2addr_b64 v[0:3], v201 offset0:64 offset1:224
	ds_load_2addr_b64 v[4:7], v194 offset1:160
	ds_load_2addr_b64 v[8:11], v200 offset0:64 offset1:224
	ds_load_2addr_b64 v[12:15], v193 offset1:160
	ds_store_2addr_b64 v192, v[18:19], v[20:21] offset1:160
	s_wait_dscnt 0x4
	v_dual_sub_f32 v18, v0, v22 :: v_dual_sub_f32 v19, v1, v23
	s_delay_alu instid0(VALU_DEP_1) | instskip(SKIP_3) | instid1(VALU_DEP_2)
	v_fma_f32 v0, v0, 2.0, -v18
	ds_store_2addr_b64 v222, v[16:17], v[18:19] offset0:32 offset1:192
	v_dual_sub_f32 v16, v2, v24 :: v_dual_sub_f32 v17, v3, v25
	v_fma_f32 v1, v1, 2.0, -v19
	v_fma_f32 v2, v2, 2.0, -v16
	s_delay_alu instid0(VALU_DEP_3)
	v_fma_f32 v3, v3, 2.0, -v17
	ds_store_2addr_b64 v201, v[0:1], v[2:3] offset0:64 offset1:224
	s_wait_dscnt 0x5
	v_dual_sub_f32 v0, v4, v26 :: v_dual_sub_f32 v1, v5, v27
	v_dual_sub_f32 v2, v6, v28 :: v_dual_sub_f32 v3, v7, v29
	ds_store_2addr_b64 v206, v[16:17], v[0:1] offset0:32 offset1:192
	v_fma_f32 v0, v4, 2.0, -v0
	v_fma_f32 v1, v5, 2.0, -v1
	;; [unrolled: 1-line block ×4, first 2 shown]
	s_wait_dscnt 0x5
	v_dual_sub_f32 v6, v8, v30 :: v_dual_sub_f32 v7, v9, v31
	ds_store_2addr_b64 v221, v[2:3], v[6:7] offset0:32 offset1:192
	v_fma_f32 v2, v8, 2.0, -v6
	v_fma_f32 v3, v9, 2.0, -v7
	v_dual_sub_f32 v6, v10, v32 :: v_dual_sub_f32 v7, v11, v33
	s_delay_alu instid0(VALU_DEP_1) | instskip(NEXT) | instid1(VALU_DEP_2)
	v_fma_f32 v8, v10, 2.0, -v6
	v_fma_f32 v9, v11, 2.0, -v7
	ds_store_2addr_b64 v194, v[0:1], v[4:5] offset1:160
	ds_store_2addr_b64 v200, v[2:3], v[8:9] offset0:64 offset1:224
	s_wait_dscnt 0x7
	v_dual_sub_f32 v0, v12, v34 :: v_dual_sub_f32 v1, v13, v35
	v_dual_sub_f32 v2, v14, v36 :: v_dual_sub_f32 v3, v15, v37
	ds_store_2addr_b64 v220, v[6:7], v[0:1] offset0:32 offset1:192
	v_fma_f32 v0, v12, 2.0, -v0
	v_fma_f32 v1, v13, 2.0, -v1
	;; [unrolled: 1-line block ×4, first 2 shown]
	ds_store_2addr_b64 v193, v[0:1], v[4:5] offset1:160
	ds_store_b64 v192, v[2:3] offset:24320
	global_wb scope:SCOPE_SE
	s_wait_dscnt 0x0
	s_barrier_signal -1
	s_barrier_wait -1
	global_inv scope:SCOPE_SE
	ds_load_2addr_b64 v[1:4], v192 offset1:160
	s_wait_dscnt 0x0
	v_mul_f32_e32 v0, v118, v2
	v_mul_f32_e32 v20, v134, v4
	s_delay_alu instid0(VALU_DEP_2) | instskip(NEXT) | instid1(VALU_DEP_2)
	v_fmac_f32_e32 v0, v117, v1
	v_dual_mul_f32 v1, v118, v1 :: v_dual_fmac_f32 v20, v133, v3
	s_delay_alu instid0(VALU_DEP_1) | instskip(SKIP_1) | instid1(VALU_DEP_1)
	v_fma_f32 v1, v117, v2, -v1
	v_mul_f32_e32 v2, v134, v3
	v_fma_f32 v21, v133, v4, -v2
	ds_load_2addr_b64 v[2:5], v201 offset0:64 offset1:224
	s_wait_dscnt 0x0
	v_mul_f32_e32 v8, v114, v3
	v_mul_f32_e32 v22, v126, v5
	s_delay_alu instid0(VALU_DEP_2) | instskip(SKIP_1) | instid1(VALU_DEP_3)
	v_fmac_f32_e32 v8, v113, v2
	v_mul_f32_e32 v2, v114, v2
	v_fmac_f32_e32 v22, v125, v4
	s_delay_alu instid0(VALU_DEP_2) | instskip(SKIP_1) | instid1(VALU_DEP_1)
	v_fma_f32 v9, v113, v3, -v2
	v_mul_f32_e32 v2, v126, v4
	v_fma_f32 v23, v125, v5, -v2
	ds_load_2addr_b64 v[2:5], v194 offset1:160
	s_wait_dscnt 0x0
	v_mul_f32_e32 v10, v144, v3
	v_mul_f32_e32 v24, v142, v5
	s_delay_alu instid0(VALU_DEP_2) | instskip(SKIP_1) | instid1(VALU_DEP_3)
	v_fmac_f32_e32 v10, v143, v2
	v_mul_f32_e32 v2, v144, v2
	v_fmac_f32_e32 v24, v141, v4
	s_delay_alu instid0(VALU_DEP_2) | instskip(SKIP_1) | instid1(VALU_DEP_1)
	v_fma_f32 v11, v143, v3, -v2
	v_mul_f32_e32 v2, v142, v4
	v_fma_f32 v25, v141, v5, -v2
	ds_load_2addr_b64 v[2:5], v200 offset0:64 offset1:224
	s_wait_dscnt 0x0
	v_mul_f32_e32 v12, v140, v3
	v_mul_f32_e32 v26, v136, v5
	s_delay_alu instid0(VALU_DEP_2) | instskip(SKIP_1) | instid1(VALU_DEP_3)
	v_fmac_f32_e32 v12, v139, v2
	v_mul_f32_e32 v2, v140, v2
	v_fmac_f32_e32 v26, v135, v4
	s_delay_alu instid0(VALU_DEP_2) | instskip(SKIP_1) | instid1(VALU_DEP_1)
	v_fma_f32 v13, v139, v3, -v2
	v_mul_f32_e32 v2, v136, v4
	v_fma_f32 v27, v135, v5, -v2
	ds_load_2addr_b64 v[2:5], v193 offset1:160
	s_wait_dscnt 0x0
	v_mul_f32_e32 v14, v108, v3
	v_mul_f32_e32 v28, v124, v5
	s_delay_alu instid0(VALU_DEP_2) | instskip(SKIP_1) | instid1(VALU_DEP_3)
	v_fmac_f32_e32 v14, v107, v2
	v_mul_f32_e32 v2, v108, v2
	v_fmac_f32_e32 v28, v123, v4
	s_delay_alu instid0(VALU_DEP_2) | instskip(SKIP_1) | instid1(VALU_DEP_1)
	;; [unrolled: 24-line block ×4, first 2 shown]
	v_fma_f32 v39, v105, v3, -v2
	v_mul_f32_e32 v2, v112, v4
	v_fma_f32 v41, v111, v5, -v2
	ds_load_2addr_b64 v[2:5], v197 offset0:64 offset1:224
	s_wait_dscnt 0x0
	v_mul_f32_e32 v42, v120, v3
	v_mul_f32_e32 v44, v110, v5
	s_delay_alu instid0(VALU_DEP_2) | instskip(SKIP_1) | instid1(VALU_DEP_3)
	v_fmac_f32_e32 v42, v119, v2
	v_mul_f32_e32 v2, v120, v2
	v_fmac_f32_e32 v44, v109, v4
	s_delay_alu instid0(VALU_DEP_2) | instskip(SKIP_1) | instid1(VALU_DEP_1)
	v_fma_f32 v43, v119, v3, -v2
	v_mul_f32_e32 v2, v110, v4
	v_fma_f32 v45, v109, v5, -v2
	v_mad_co_u64_u32 v[2:3], null, s6, v213, 0
	s_mul_i32 s6, s5, 0x1400
	s_delay_alu instid0(VALU_DEP_1) | instskip(SKIP_1) | instid1(VALU_DEP_1)
	v_mad_co_u64_u32 v[3:4], null, s7, v213, v[3:4]
	v_mad_co_u64_u32 v[4:5], null, s4, v191, 0
	;; [unrolled: 1-line block ×3, first 2 shown]
	v_cvt_f64_f32_e32 v[6:7], v0
	v_cvt_f64_f32_e32 v[0:1], v1
	s_wait_alu 0xfffe
	s_delay_alu instid0(VALU_DEP_2) | instskip(NEXT) | instid1(VALU_DEP_2)
	v_mul_f64_e32 v[6:7], s[2:3], v[6:7]
	v_mul_f64_e32 v[0:1], s[2:3], v[0:1]
	s_delay_alu instid0(VALU_DEP_2) | instskip(NEXT) | instid1(VALU_DEP_2)
	v_cvt_f32_f64_e32 v6, v[6:7]
	v_cvt_f32_f64_e32 v7, v[0:1]
	v_lshlrev_b64_e32 v[0:1], 3, v[2:3]
	v_cvt_f64_f32_e32 v[2:3], v8
	s_delay_alu instid0(VALU_DEP_2) | instskip(SKIP_1) | instid1(VALU_DEP_3)
	v_add_co_u32 v46, vcc_lo, s0, v0
	s_wait_alu 0xfffd
	v_add_co_ci_u32_e32 v47, vcc_lo, s1, v1, vcc_lo
	v_lshlrev_b64_e32 v[0:1], 3, v[4:5]
	v_cvt_f64_f32_e32 v[4:5], v9
	v_cvt_f64_f32_e32 v[8:9], v13
	s_mul_u64 s[0:1], s[4:5], 0xa00
	s_delay_alu instid0(VALU_DEP_3)
	v_add_co_u32 v0, vcc_lo, v46, v0
	s_wait_alu 0xfffd
	v_add_co_ci_u32_e32 v1, vcc_lo, v47, v1, vcc_lo
	global_store_b64 v[0:1], v[6:7], off
	v_cvt_f64_f32_e32 v[6:7], v11
	v_mul_f64_e32 v[2:3], s[2:3], v[2:3]
	s_wait_alu 0xfffe
	v_add_co_u32 v0, vcc_lo, v0, s0
	s_wait_alu 0xfffd
	v_add_co_ci_u32_e32 v1, vcc_lo, s1, v1, vcc_lo
	v_mul_f64_e32 v[4:5], s[2:3], v[4:5]
	v_mul_f64_e32 v[8:9], s[2:3], v[8:9]
	v_mul_f64_e32 v[6:7], s[2:3], v[6:7]
	v_cvt_f32_f64_e32 v2, v[2:3]
	s_delay_alu instid0(VALU_DEP_4)
	v_cvt_f32_f64_e32 v3, v[4:5]
	v_cvt_f64_f32_e32 v[4:5], v10
	v_cvt_f64_f32_e32 v[10:11], v15
	global_store_b64 v[0:1], v[2:3], off
	v_mul_f64_e32 v[4:5], s[2:3], v[4:5]
	v_mul_f64_e32 v[10:11], s[2:3], v[10:11]
	v_add_co_u32 v0, vcc_lo, v0, s0
	s_wait_alu 0xfffd
	v_add_co_ci_u32_e32 v1, vcc_lo, s1, v1, vcc_lo
	s_delay_alu instid0(VALU_DEP_4)
	v_cvt_f32_f64_e32 v4, v[4:5]
	v_cvt_f32_f64_e32 v5, v[6:7]
	v_cvt_f64_f32_e32 v[6:7], v12
	v_cvt_f64_f32_e32 v[12:13], v19
	global_store_b64 v[0:1], v[4:5], off
	v_mul_f64_e32 v[6:7], s[2:3], v[6:7]
	v_add_co_u32 v0, vcc_lo, v0, s0
	s_wait_alu 0xfffd
	v_add_co_ci_u32_e32 v1, vcc_lo, s1, v1, vcc_lo
	v_mul_f64_e32 v[12:13], s[2:3], v[12:13]
	s_delay_alu instid0(VALU_DEP_4) | instskip(SKIP_4) | instid1(VALU_DEP_1)
	v_cvt_f32_f64_e32 v6, v[6:7]
	v_cvt_f32_f64_e32 v7, v[8:9]
	scratch_load_b32 v8, off, off offset:4 th:TH_LOAD_LU ; 4-byte Folded Reload
	global_store_b64 v[0:1], v[6:7], off
	v_mad_co_u64_u32 v[0:1], null, 0x1400, s4, v[0:1]
	v_add_nc_u32_e32 v1, s6, v1
	s_wait_loadcnt 0x0
	v_mad_co_u64_u32 v[2:3], null, s4, v8, 0
	s_delay_alu instid0(VALU_DEP_1) | instskip(NEXT) | instid1(VALU_DEP_1)
	v_mad_co_u64_u32 v[8:9], null, s5, v8, v[3:4]
	v_mov_b32_e32 v3, v8
	v_cvt_f64_f32_e32 v[8:9], v14
	v_cvt_f64_f32_e32 v[14:15], v35
	s_delay_alu instid0(VALU_DEP_3) | instskip(NEXT) | instid1(VALU_DEP_1)
	v_lshlrev_b64_e32 v[2:3], 3, v[2:3]
	v_add_co_u32 v2, vcc_lo, v46, v2
	s_wait_alu 0xfffd
	s_delay_alu instid0(VALU_DEP_2) | instskip(SKIP_2) | instid1(VALU_DEP_2)
	v_add_co_ci_u32_e32 v3, vcc_lo, v47, v3, vcc_lo
	v_mul_f64_e32 v[8:9], s[2:3], v[8:9]
	v_mul_f64_e32 v[14:15], s[2:3], v[14:15]
	v_cvt_f32_f64_e32 v8, v[8:9]
	v_cvt_f32_f64_e32 v9, v[10:11]
	scratch_load_b32 v10, off, off th:TH_LOAD_LU ; 4-byte Folded Reload
	global_store_b64 v[2:3], v[8:9], off
	v_cvt_f64_f32_e32 v[8:9], v21
	s_delay_alu instid0(VALU_DEP_1) | instskip(SKIP_2) | instid1(VALU_DEP_1)
	v_mul_f64_e32 v[8:9], s[2:3], v[8:9]
	s_wait_loadcnt 0x0
	v_mad_co_u64_u32 v[4:5], null, s4, v10, 0
	v_mad_co_u64_u32 v[5:6], null, s5, v10, v[5:6]
	v_cvt_f64_f32_e32 v[6:7], v16
	v_cvt_f64_f32_e32 v[10:11], v17
	;; [unrolled: 1-line block ×3, first 2 shown]
	s_delay_alu instid0(VALU_DEP_4) | instskip(SKIP_4) | instid1(VALU_DEP_4)
	v_lshlrev_b64_e32 v[2:3], 3, v[4:5]
	v_cvt_f64_f32_e32 v[4:5], v20
	v_add_co_u32 v20, vcc_lo, v0, s0
	s_wait_alu 0xfffd
	v_add_co_ci_u32_e32 v21, vcc_lo, s1, v1, vcc_lo
	v_add_co_u32 v2, vcc_lo, v46, v2
	s_wait_alu 0xfffd
	v_add_co_ci_u32_e32 v3, vcc_lo, v47, v3, vcc_lo
	v_mul_f64_e32 v[6:7], s[2:3], v[6:7]
	v_mul_f64_e32 v[10:11], s[2:3], v[10:11]
	;; [unrolled: 1-line block ×4, first 2 shown]
	s_delay_alu instid0(VALU_DEP_4) | instskip(NEXT) | instid1(VALU_DEP_4)
	v_cvt_f32_f64_e32 v6, v[6:7]
	v_cvt_f32_f64_e32 v7, v[10:11]
	v_cvt_f64_f32_e32 v[10:11], v18
	v_cvt_f64_f32_e32 v[18:19], v43
	v_cvt_f32_f64_e32 v4, v[4:5]
	v_cvt_f32_f64_e32 v5, v[8:9]
	global_store_b64 v[0:1], v[6:7], off
	v_mul_f64_e32 v[10:11], s[2:3], v[10:11]
	v_mul_f64_e32 v[18:19], s[2:3], v[18:19]
	v_cvt_f64_f32_e32 v[0:1], v22
	v_cvt_f64_f32_e32 v[6:7], v23
	;; [unrolled: 1-line block ×3, first 2 shown]
	v_cvt_f32_f64_e32 v10, v[10:11]
	v_cvt_f32_f64_e32 v11, v[12:13]
	v_cvt_f64_f32_e32 v[12:13], v34
	v_cvt_f64_f32_e32 v[34:35], v37
	v_mul_f64_e32 v[0:1], s[2:3], v[0:1]
	v_mul_f64_e32 v[6:7], s[2:3], v[6:7]
	;; [unrolled: 1-line block ×3, first 2 shown]
	global_store_b64 v[20:21], v[10:11], off
	v_mul_f64_e32 v[12:13], s[2:3], v[12:13]
	v_add_co_u32 v10, vcc_lo, v20, s0
	s_wait_alu 0xfffd
	v_add_co_ci_u32_e32 v11, vcc_lo, s1, v21, vcc_lo
	v_cvt_f64_f32_e32 v[20:21], v24
	v_cvt_f64_f32_e32 v[24:25], v26
	;; [unrolled: 1-line block ×3, first 2 shown]
	v_mul_f64_e32 v[34:35], s[2:3], v[34:35]
	v_cvt_f32_f64_e32 v0, v[0:1]
	v_cvt_f32_f64_e32 v1, v[6:7]
	;; [unrolled: 1-line block ×4, first 2 shown]
	v_cvt_f64_f32_e32 v[14:15], v38
	v_cvt_f64_f32_e32 v[38:39], v41
	v_mul_f64_e32 v[20:21], s[2:3], v[20:21]
	v_mul_f64_e32 v[24:25], s[2:3], v[24:25]
	;; [unrolled: 1-line block ×5, first 2 shown]
	v_cvt_f32_f64_e32 v20, v[20:21]
	v_cvt_f32_f64_e32 v21, v[22:23]
	;; [unrolled: 1-line block ×6, first 2 shown]
	v_cvt_f64_f32_e32 v[16:17], v42
	global_store_b64 v[10:11], v[12:13], off
	global_store_b64 v[2:3], v[14:15], off
	v_cvt_f64_f32_e32 v[12:13], v28
	v_mul_f64_e32 v[16:17], s[2:3], v[16:17]
	v_cvt_f64_f32_e32 v[14:15], v29
	v_cvt_f32_f64_e32 v3, v[18:19]
	v_cvt_f64_f32_e32 v[18:19], v31
	v_cvt_f64_f32_e32 v[28:29], v32
	;; [unrolled: 1-line block ×3, first 2 shown]
	v_mad_co_u64_u32 v[10:11], null, 0x1400, s4, v[10:11]
	v_cvt_f32_f64_e32 v27, v[38:39]
	s_delay_alu instid0(VALU_DEP_2) | instskip(NEXT) | instid1(VALU_DEP_1)
	v_add_nc_u32_e32 v11, s6, v11
	v_mad_co_u64_u32 v[8:9], null, 0xffffab00, s4, v[10:11]
	s_delay_alu instid0(VALU_DEP_1)
	v_add_co_u32 v6, vcc_lo, v8, s0
	v_mul_f64_e32 v[12:13], s[2:3], v[12:13]
	v_cvt_f32_f64_e32 v2, v[16:17]
	v_cvt_f64_f32_e32 v[16:17], v30
	v_cvt_f64_f32_e32 v[30:31], v33
	v_cvt_f64_f32_e32 v[32:33], v36
	v_cvt_f64_f32_e32 v[36:37], v40
	v_cvt_f64_f32_e32 v[40:41], v44
	v_mul_f64_e32 v[14:15], s[2:3], v[14:15]
	v_mul_f64_e32 v[18:19], s[2:3], v[18:19]
	v_mul_f64_e32 v[28:29], s[2:3], v[28:29]
	v_mul_f64_e32 v[42:43], s[2:3], v[42:43]
	v_cvt_f32_f64_e32 v12, v[12:13]
	global_store_b64 v[10:11], v[2:3], off
	v_mul_f64_e32 v[16:17], s[2:3], v[16:17]
	v_mul_f64_e32 v[30:31], s[2:3], v[30:31]
	v_mul_f64_e32 v[32:33], s[2:3], v[32:33]
	v_mul_f64_e32 v[36:37], s[2:3], v[36:37]
	v_mul_f64_e32 v[40:41], s[2:3], v[40:41]
	s_mul_i32 s2, s5, 0xffffab00
	v_cvt_f32_f64_e32 v13, v[14:15]
	s_wait_alu 0xfffe
	s_sub_co_i32 s2, s2, s4
	v_cvt_f32_f64_e32 v15, v[18:19]
	s_wait_alu 0xfffe
	v_add_nc_u32_e32 v9, s2, v9
	v_cvt_f32_f64_e32 v19, v[34:35]
	s_wait_alu 0xfffd
	s_delay_alu instid0(VALU_DEP_2)
	v_add_co_ci_u32_e32 v7, vcc_lo, s1, v9, vcc_lo
	v_add_co_u32 v24, vcc_lo, v6, s0
	global_store_b64 v[8:9], v[4:5], off
	s_wait_alu 0xfffd
	v_add_co_ci_u32_e32 v25, vcc_lo, s1, v7, vcc_lo
	global_store_b64 v[6:7], v[0:1], off
	global_store_b64 v[24:25], v[20:21], off
	v_cvt_f32_f64_e32 v14, v[16:17]
	v_cvt_f32_f64_e32 v16, v[28:29]
	;; [unrolled: 1-line block ×7, first 2 shown]
	v_add_co_u32 v30, vcc_lo, v24, s0
	s_wait_alu 0xfffd
	v_add_co_ci_u32_e32 v31, vcc_lo, s1, v25, vcc_lo
	s_delay_alu instid0(VALU_DEP_2) | instskip(SKIP_1) | instid1(VALU_DEP_2)
	v_add_co_u32 v2, vcc_lo, v30, s0
	s_wait_alu 0xfffd
	v_add_co_ci_u32_e32 v3, vcc_lo, s1, v31, vcc_lo
	global_store_b64 v[30:31], v[22:23], off
	v_add_co_u32 v4, vcc_lo, v2, s0
	s_wait_alu 0xfffd
	v_add_co_ci_u32_e32 v5, vcc_lo, s1, v3, vcc_lo
	global_store_b64 v[2:3], v[12:13], off
	v_add_co_u32 v0, vcc_lo, v4, s0
	s_wait_alu 0xfffd
	v_add_co_ci_u32_e32 v1, vcc_lo, s1, v5, vcc_lo
	s_delay_alu instid0(VALU_DEP_2) | instskip(SKIP_1) | instid1(VALU_DEP_2)
	v_add_co_u32 v6, vcc_lo, v0, s0
	s_wait_alu 0xfffd
	v_add_co_ci_u32_e32 v7, vcc_lo, s1, v1, vcc_lo
	s_delay_alu instid0(VALU_DEP_2) | instskip(SKIP_1) | instid1(VALU_DEP_2)
	;; [unrolled: 4-line block ×3, first 2 shown]
	v_add_co_u32 v2, vcc_lo, v8, s0
	s_wait_alu 0xfffd
	v_add_co_ci_u32_e32 v3, vcc_lo, s1, v9, vcc_lo
	global_store_b64 v[4:5], v[14:15], off
	global_store_b64 v[0:1], v[16:17], off
	;; [unrolled: 1-line block ×5, first 2 shown]
.LBB0_2:
	s_nop 0
	s_sendmsg sendmsg(MSG_DEALLOC_VGPRS)
	s_endpgm
	.section	.rodata,"a",@progbits
	.p2align	6, 0x0
	.amdhsa_kernel bluestein_single_fwd_len3200_dim1_sp_op_CI_CI
		.amdhsa_group_segment_fixed_size 25600
		.amdhsa_private_segment_fixed_size 32
		.amdhsa_kernarg_size 104
		.amdhsa_user_sgpr_count 2
		.amdhsa_user_sgpr_dispatch_ptr 0
		.amdhsa_user_sgpr_queue_ptr 0
		.amdhsa_user_sgpr_kernarg_segment_ptr 1
		.amdhsa_user_sgpr_dispatch_id 0
		.amdhsa_user_sgpr_private_segment_size 0
		.amdhsa_wavefront_size32 1
		.amdhsa_uses_dynamic_stack 0
		.amdhsa_enable_private_segment 1
		.amdhsa_system_sgpr_workgroup_id_x 1
		.amdhsa_system_sgpr_workgroup_id_y 0
		.amdhsa_system_sgpr_workgroup_id_z 0
		.amdhsa_system_sgpr_workgroup_info 0
		.amdhsa_system_vgpr_workitem_id 0
		.amdhsa_next_free_vgpr 256
		.amdhsa_next_free_sgpr 20
		.amdhsa_reserve_vcc 1
		.amdhsa_float_round_mode_32 0
		.amdhsa_float_round_mode_16_64 0
		.amdhsa_float_denorm_mode_32 3
		.amdhsa_float_denorm_mode_16_64 3
		.amdhsa_fp16_overflow 0
		.amdhsa_workgroup_processor_mode 1
		.amdhsa_memory_ordered 1
		.amdhsa_forward_progress 0
		.amdhsa_round_robin_scheduling 0
		.amdhsa_exception_fp_ieee_invalid_op 0
		.amdhsa_exception_fp_denorm_src 0
		.amdhsa_exception_fp_ieee_div_zero 0
		.amdhsa_exception_fp_ieee_overflow 0
		.amdhsa_exception_fp_ieee_underflow 0
		.amdhsa_exception_fp_ieee_inexact 0
		.amdhsa_exception_int_div_zero 0
	.end_amdhsa_kernel
	.text
.Lfunc_end0:
	.size	bluestein_single_fwd_len3200_dim1_sp_op_CI_CI, .Lfunc_end0-bluestein_single_fwd_len3200_dim1_sp_op_CI_CI
                                        ; -- End function
	.section	.AMDGPU.csdata,"",@progbits
; Kernel info:
; codeLenInByte = 22604
; NumSgprs: 22
; NumVgprs: 256
; ScratchSize: 32
; MemoryBound: 0
; FloatMode: 240
; IeeeMode: 1
; LDSByteSize: 25600 bytes/workgroup (compile time only)
; SGPRBlocks: 2
; VGPRBlocks: 31
; NumSGPRsForWavesPerEU: 22
; NumVGPRsForWavesPerEU: 256
; Occupancy: 5
; WaveLimiterHint : 1
; COMPUTE_PGM_RSRC2:SCRATCH_EN: 1
; COMPUTE_PGM_RSRC2:USER_SGPR: 2
; COMPUTE_PGM_RSRC2:TRAP_HANDLER: 0
; COMPUTE_PGM_RSRC2:TGID_X_EN: 1
; COMPUTE_PGM_RSRC2:TGID_Y_EN: 0
; COMPUTE_PGM_RSRC2:TGID_Z_EN: 0
; COMPUTE_PGM_RSRC2:TIDIG_COMP_CNT: 0
	.text
	.p2alignl 7, 3214868480
	.fill 96, 4, 3214868480
	.type	__hip_cuid_53628ecae1ce89dc,@object ; @__hip_cuid_53628ecae1ce89dc
	.section	.bss,"aw",@nobits
	.globl	__hip_cuid_53628ecae1ce89dc
__hip_cuid_53628ecae1ce89dc:
	.byte	0                               ; 0x0
	.size	__hip_cuid_53628ecae1ce89dc, 1

	.ident	"AMD clang version 19.0.0git (https://github.com/RadeonOpenCompute/llvm-project roc-6.4.0 25133 c7fe45cf4b819c5991fe208aaa96edf142730f1d)"
	.section	".note.GNU-stack","",@progbits
	.addrsig
	.addrsig_sym __hip_cuid_53628ecae1ce89dc
	.amdgpu_metadata
---
amdhsa.kernels:
  - .args:
      - .actual_access:  read_only
        .address_space:  global
        .offset:         0
        .size:           8
        .value_kind:     global_buffer
      - .actual_access:  read_only
        .address_space:  global
        .offset:         8
        .size:           8
        .value_kind:     global_buffer
      - .actual_access:  read_only
        .address_space:  global
        .offset:         16
        .size:           8
        .value_kind:     global_buffer
      - .actual_access:  read_only
        .address_space:  global
        .offset:         24
        .size:           8
        .value_kind:     global_buffer
      - .actual_access:  read_only
        .address_space:  global
        .offset:         32
        .size:           8
        .value_kind:     global_buffer
      - .offset:         40
        .size:           8
        .value_kind:     by_value
      - .address_space:  global
        .offset:         48
        .size:           8
        .value_kind:     global_buffer
      - .address_space:  global
        .offset:         56
        .size:           8
        .value_kind:     global_buffer
      - .address_space:  global
        .offset:         64
        .size:           8
        .value_kind:     global_buffer
      - .address_space:  global
        .offset:         72
        .size:           8
        .value_kind:     global_buffer
      - .offset:         80
        .size:           4
        .value_kind:     by_value
      - .address_space:  global
        .offset:         88
        .size:           8
        .value_kind:     global_buffer
      - .address_space:  global
        .offset:         96
        .size:           8
        .value_kind:     global_buffer
    .group_segment_fixed_size: 25600
    .kernarg_segment_align: 8
    .kernarg_segment_size: 104
    .language:       OpenCL C
    .language_version:
      - 2
      - 0
    .max_flat_workgroup_size: 160
    .name:           bluestein_single_fwd_len3200_dim1_sp_op_CI_CI
    .private_segment_fixed_size: 32
    .sgpr_count:     22
    .sgpr_spill_count: 0
    .symbol:         bluestein_single_fwd_len3200_dim1_sp_op_CI_CI.kd
    .uniform_work_group_size: 1
    .uses_dynamic_stack: false
    .vgpr_count:     256
    .vgpr_spill_count: 7
    .wavefront_size: 32
    .workgroup_processor_mode: 1
amdhsa.target:   amdgcn-amd-amdhsa--gfx1201
amdhsa.version:
  - 1
  - 2
...

	.end_amdgpu_metadata
